;; amdgpu-corpus repo=ROCm/rocFFT kind=compiled arch=gfx1201 opt=O3
	.text
	.amdgcn_target "amdgcn-amd-amdhsa--gfx1201"
	.amdhsa_code_object_version 6
	.protected	fft_rtc_fwd_len2040_factors_17_4_3_10_wgs_170_tpt_170_halfLds_half_ip_CI_unitstride_sbrr_C2R_dirReg ; -- Begin function fft_rtc_fwd_len2040_factors_17_4_3_10_wgs_170_tpt_170_halfLds_half_ip_CI_unitstride_sbrr_C2R_dirReg
	.globl	fft_rtc_fwd_len2040_factors_17_4_3_10_wgs_170_tpt_170_halfLds_half_ip_CI_unitstride_sbrr_C2R_dirReg
	.p2align	8
	.type	fft_rtc_fwd_len2040_factors_17_4_3_10_wgs_170_tpt_170_halfLds_half_ip_CI_unitstride_sbrr_C2R_dirReg,@function
fft_rtc_fwd_len2040_factors_17_4_3_10_wgs_170_tpt_170_halfLds_half_ip_CI_unitstride_sbrr_C2R_dirReg: ; @fft_rtc_fwd_len2040_factors_17_4_3_10_wgs_170_tpt_170_halfLds_half_ip_CI_unitstride_sbrr_C2R_dirReg
; %bb.0:
	s_clause 0x2
	s_load_b128 s[4:7], s[0:1], 0x0
	s_load_b64 s[8:9], s[0:1], 0x50
	s_load_b64 s[10:11], s[0:1], 0x18
	v_mul_u32_u24_e32 v1, 0x182, v0
	v_mov_b32_e32 v3, 0
	s_delay_alu instid0(VALU_DEP_2) | instskip(NEXT) | instid1(VALU_DEP_1)
	v_lshrrev_b32_e32 v1, 16, v1
	v_add_nc_u32_e32 v5, ttmp9, v1
	v_mov_b32_e32 v1, 0
	v_mov_b32_e32 v2, 0
	;; [unrolled: 1-line block ×3, first 2 shown]
	s_wait_kmcnt 0x0
	v_cmp_lt_u64_e64 s2, s[6:7], 2
	s_delay_alu instid0(VALU_DEP_1)
	s_and_b32 vcc_lo, exec_lo, s2
	s_cbranch_vccnz .LBB0_8
; %bb.1:
	s_load_b64 s[2:3], s[0:1], 0x10
	v_mov_b32_e32 v1, 0
	v_mov_b32_e32 v2, 0
	s_add_nc_u64 s[12:13], s[10:11], 8
	s_mov_b64 s[14:15], 1
	s_wait_kmcnt 0x0
	s_add_nc_u64 s[16:17], s[2:3], 8
	s_mov_b32 s3, 0
.LBB0_2:                                ; =>This Inner Loop Header: Depth=1
	s_load_b64 s[18:19], s[16:17], 0x0
                                        ; implicit-def: $vgpr7_vgpr8
	s_mov_b32 s2, exec_lo
	s_wait_kmcnt 0x0
	v_or_b32_e32 v4, s19, v6
	s_delay_alu instid0(VALU_DEP_1)
	v_cmpx_ne_u64_e32 0, v[3:4]
	s_wait_alu 0xfffe
	s_xor_b32 s20, exec_lo, s2
	s_cbranch_execz .LBB0_4
; %bb.3:                                ;   in Loop: Header=BB0_2 Depth=1
	s_cvt_f32_u32 s2, s18
	s_cvt_f32_u32 s21, s19
	s_sub_nc_u64 s[24:25], 0, s[18:19]
	s_wait_alu 0xfffe
	s_delay_alu instid0(SALU_CYCLE_1) | instskip(SKIP_1) | instid1(SALU_CYCLE_2)
	s_fmamk_f32 s2, s21, 0x4f800000, s2
	s_wait_alu 0xfffe
	v_s_rcp_f32 s2, s2
	s_delay_alu instid0(TRANS32_DEP_1) | instskip(SKIP_1) | instid1(SALU_CYCLE_2)
	s_mul_f32 s2, s2, 0x5f7ffffc
	s_wait_alu 0xfffe
	s_mul_f32 s21, s2, 0x2f800000
	s_wait_alu 0xfffe
	s_delay_alu instid0(SALU_CYCLE_2) | instskip(SKIP_1) | instid1(SALU_CYCLE_2)
	s_trunc_f32 s21, s21
	s_wait_alu 0xfffe
	s_fmamk_f32 s2, s21, 0xcf800000, s2
	s_cvt_u32_f32 s23, s21
	s_wait_alu 0xfffe
	s_delay_alu instid0(SALU_CYCLE_1) | instskip(SKIP_1) | instid1(SALU_CYCLE_2)
	s_cvt_u32_f32 s22, s2
	s_wait_alu 0xfffe
	s_mul_u64 s[26:27], s[24:25], s[22:23]
	s_wait_alu 0xfffe
	s_mul_hi_u32 s29, s22, s27
	s_mul_i32 s28, s22, s27
	s_mul_hi_u32 s2, s22, s26
	s_mul_i32 s30, s23, s26
	s_wait_alu 0xfffe
	s_add_nc_u64 s[28:29], s[2:3], s[28:29]
	s_mul_hi_u32 s21, s23, s26
	s_mul_hi_u32 s31, s23, s27
	s_add_co_u32 s2, s28, s30
	s_wait_alu 0xfffe
	s_add_co_ci_u32 s2, s29, s21
	s_mul_i32 s26, s23, s27
	s_add_co_ci_u32 s27, s31, 0
	s_wait_alu 0xfffe
	s_add_nc_u64 s[26:27], s[2:3], s[26:27]
	s_wait_alu 0xfffe
	v_add_co_u32 v4, s2, s22, s26
	s_delay_alu instid0(VALU_DEP_1) | instskip(SKIP_1) | instid1(VALU_DEP_1)
	s_cmp_lg_u32 s2, 0
	s_add_co_ci_u32 s23, s23, s27
	v_readfirstlane_b32 s22, v4
	s_wait_alu 0xfffe
	s_delay_alu instid0(VALU_DEP_1)
	s_mul_u64 s[24:25], s[24:25], s[22:23]
	s_wait_alu 0xfffe
	s_mul_hi_u32 s27, s22, s25
	s_mul_i32 s26, s22, s25
	s_mul_hi_u32 s2, s22, s24
	s_mul_i32 s28, s23, s24
	s_wait_alu 0xfffe
	s_add_nc_u64 s[26:27], s[2:3], s[26:27]
	s_mul_hi_u32 s21, s23, s24
	s_mul_hi_u32 s22, s23, s25
	s_wait_alu 0xfffe
	s_add_co_u32 s2, s26, s28
	s_add_co_ci_u32 s2, s27, s21
	s_mul_i32 s24, s23, s25
	s_add_co_ci_u32 s25, s22, 0
	s_wait_alu 0xfffe
	s_add_nc_u64 s[24:25], s[2:3], s[24:25]
	s_wait_alu 0xfffe
	v_add_co_u32 v4, s2, v4, s24
	s_delay_alu instid0(VALU_DEP_1) | instskip(SKIP_1) | instid1(VALU_DEP_1)
	s_cmp_lg_u32 s2, 0
	s_add_co_ci_u32 s2, s23, s25
	v_mul_hi_u32 v13, v5, v4
	s_wait_alu 0xfffe
	v_mad_co_u64_u32 v[7:8], null, v5, s2, 0
	v_mad_co_u64_u32 v[9:10], null, v6, v4, 0
	;; [unrolled: 1-line block ×3, first 2 shown]
	s_delay_alu instid0(VALU_DEP_3) | instskip(SKIP_1) | instid1(VALU_DEP_4)
	v_add_co_u32 v4, vcc_lo, v13, v7
	s_wait_alu 0xfffd
	v_add_co_ci_u32_e32 v7, vcc_lo, 0, v8, vcc_lo
	s_delay_alu instid0(VALU_DEP_2) | instskip(SKIP_1) | instid1(VALU_DEP_2)
	v_add_co_u32 v4, vcc_lo, v4, v9
	s_wait_alu 0xfffd
	v_add_co_ci_u32_e32 v4, vcc_lo, v7, v10, vcc_lo
	s_wait_alu 0xfffd
	v_add_co_ci_u32_e32 v7, vcc_lo, 0, v12, vcc_lo
	s_delay_alu instid0(VALU_DEP_2) | instskip(SKIP_1) | instid1(VALU_DEP_2)
	v_add_co_u32 v4, vcc_lo, v4, v11
	s_wait_alu 0xfffd
	v_add_co_ci_u32_e32 v9, vcc_lo, 0, v7, vcc_lo
	s_delay_alu instid0(VALU_DEP_2) | instskip(SKIP_1) | instid1(VALU_DEP_3)
	v_mul_lo_u32 v10, s19, v4
	v_mad_co_u64_u32 v[7:8], null, s18, v4, 0
	v_mul_lo_u32 v11, s18, v9
	s_delay_alu instid0(VALU_DEP_2) | instskip(NEXT) | instid1(VALU_DEP_2)
	v_sub_co_u32 v7, vcc_lo, v5, v7
	v_add3_u32 v8, v8, v11, v10
	s_delay_alu instid0(VALU_DEP_1) | instskip(SKIP_1) | instid1(VALU_DEP_1)
	v_sub_nc_u32_e32 v10, v6, v8
	s_wait_alu 0xfffd
	v_subrev_co_ci_u32_e64 v10, s2, s19, v10, vcc_lo
	v_add_co_u32 v11, s2, v4, 2
	s_wait_alu 0xf1ff
	v_add_co_ci_u32_e64 v12, s2, 0, v9, s2
	v_sub_co_u32 v13, s2, v7, s18
	v_sub_co_ci_u32_e32 v8, vcc_lo, v6, v8, vcc_lo
	s_wait_alu 0xf1ff
	v_subrev_co_ci_u32_e64 v10, s2, 0, v10, s2
	s_delay_alu instid0(VALU_DEP_3) | instskip(NEXT) | instid1(VALU_DEP_3)
	v_cmp_le_u32_e32 vcc_lo, s18, v13
	v_cmp_eq_u32_e64 s2, s19, v8
	s_wait_alu 0xfffd
	v_cndmask_b32_e64 v13, 0, -1, vcc_lo
	v_cmp_le_u32_e32 vcc_lo, s19, v10
	s_wait_alu 0xfffd
	v_cndmask_b32_e64 v14, 0, -1, vcc_lo
	v_cmp_le_u32_e32 vcc_lo, s18, v7
	;; [unrolled: 3-line block ×3, first 2 shown]
	s_wait_alu 0xfffd
	v_cndmask_b32_e64 v15, 0, -1, vcc_lo
	v_cmp_eq_u32_e32 vcc_lo, s19, v10
	s_wait_alu 0xf1ff
	s_delay_alu instid0(VALU_DEP_2)
	v_cndmask_b32_e64 v7, v15, v7, s2
	s_wait_alu 0xfffd
	v_cndmask_b32_e32 v10, v14, v13, vcc_lo
	v_add_co_u32 v13, vcc_lo, v4, 1
	s_wait_alu 0xfffd
	v_add_co_ci_u32_e32 v14, vcc_lo, 0, v9, vcc_lo
	s_delay_alu instid0(VALU_DEP_3) | instskip(SKIP_2) | instid1(VALU_DEP_3)
	v_cmp_ne_u32_e32 vcc_lo, 0, v10
	s_wait_alu 0xfffd
	v_cndmask_b32_e32 v10, v13, v11, vcc_lo
	v_cndmask_b32_e32 v8, v14, v12, vcc_lo
	v_cmp_ne_u32_e32 vcc_lo, 0, v7
	s_wait_alu 0xfffd
	s_delay_alu instid0(VALU_DEP_2)
	v_dual_cndmask_b32 v7, v4, v10 :: v_dual_cndmask_b32 v8, v9, v8
.LBB0_4:                                ;   in Loop: Header=BB0_2 Depth=1
	s_wait_alu 0xfffe
	s_and_not1_saveexec_b32 s2, s20
	s_cbranch_execz .LBB0_6
; %bb.5:                                ;   in Loop: Header=BB0_2 Depth=1
	v_cvt_f32_u32_e32 v4, s18
	s_sub_co_i32 s20, 0, s18
	s_delay_alu instid0(VALU_DEP_1) | instskip(NEXT) | instid1(TRANS32_DEP_1)
	v_rcp_iflag_f32_e32 v4, v4
	v_mul_f32_e32 v4, 0x4f7ffffe, v4
	s_delay_alu instid0(VALU_DEP_1) | instskip(SKIP_1) | instid1(VALU_DEP_1)
	v_cvt_u32_f32_e32 v4, v4
	s_wait_alu 0xfffe
	v_mul_lo_u32 v7, s20, v4
	s_delay_alu instid0(VALU_DEP_1) | instskip(NEXT) | instid1(VALU_DEP_1)
	v_mul_hi_u32 v7, v4, v7
	v_add_nc_u32_e32 v4, v4, v7
	s_delay_alu instid0(VALU_DEP_1) | instskip(NEXT) | instid1(VALU_DEP_1)
	v_mul_hi_u32 v4, v5, v4
	v_mul_lo_u32 v7, v4, s18
	v_add_nc_u32_e32 v8, 1, v4
	s_delay_alu instid0(VALU_DEP_2) | instskip(NEXT) | instid1(VALU_DEP_1)
	v_sub_nc_u32_e32 v7, v5, v7
	v_subrev_nc_u32_e32 v9, s18, v7
	v_cmp_le_u32_e32 vcc_lo, s18, v7
	s_wait_alu 0xfffd
	s_delay_alu instid0(VALU_DEP_2) | instskip(NEXT) | instid1(VALU_DEP_1)
	v_dual_cndmask_b32 v7, v7, v9 :: v_dual_cndmask_b32 v4, v4, v8
	v_cmp_le_u32_e32 vcc_lo, s18, v7
	s_delay_alu instid0(VALU_DEP_2) | instskip(SKIP_1) | instid1(VALU_DEP_1)
	v_add_nc_u32_e32 v8, 1, v4
	s_wait_alu 0xfffd
	v_dual_cndmask_b32 v7, v4, v8 :: v_dual_mov_b32 v8, v3
.LBB0_6:                                ;   in Loop: Header=BB0_2 Depth=1
	s_wait_alu 0xfffe
	s_or_b32 exec_lo, exec_lo, s2
	s_load_b64 s[20:21], s[12:13], 0x0
	s_delay_alu instid0(VALU_DEP_1)
	v_mul_lo_u32 v4, v8, s18
	v_mul_lo_u32 v11, v7, s19
	v_mad_co_u64_u32 v[9:10], null, v7, s18, 0
	s_add_nc_u64 s[14:15], s[14:15], 1
	s_add_nc_u64 s[12:13], s[12:13], 8
	s_wait_alu 0xfffe
	v_cmp_ge_u64_e64 s2, s[14:15], s[6:7]
	s_add_nc_u64 s[16:17], s[16:17], 8
	s_delay_alu instid0(VALU_DEP_2) | instskip(NEXT) | instid1(VALU_DEP_3)
	v_add3_u32 v4, v10, v11, v4
	v_sub_co_u32 v5, vcc_lo, v5, v9
	s_wait_alu 0xfffd
	s_delay_alu instid0(VALU_DEP_2) | instskip(SKIP_3) | instid1(VALU_DEP_2)
	v_sub_co_ci_u32_e32 v4, vcc_lo, v6, v4, vcc_lo
	s_and_b32 vcc_lo, exec_lo, s2
	s_wait_kmcnt 0x0
	v_mul_lo_u32 v6, s21, v5
	v_mul_lo_u32 v4, s20, v4
	v_mad_co_u64_u32 v[1:2], null, s20, v5, v[1:2]
	s_delay_alu instid0(VALU_DEP_1)
	v_add3_u32 v2, v6, v2, v4
	s_wait_alu 0xfffe
	s_cbranch_vccnz .LBB0_9
; %bb.7:                                ;   in Loop: Header=BB0_2 Depth=1
	v_dual_mov_b32 v5, v7 :: v_dual_mov_b32 v6, v8
	s_branch .LBB0_2
.LBB0_8:
	v_dual_mov_b32 v8, v6 :: v_dual_mov_b32 v7, v5
.LBB0_9:
	s_lshl_b64 s[2:3], s[6:7], 3
	v_mul_hi_u32 v5, 0x1818182, v0
	s_wait_alu 0xfffe
	s_add_nc_u64 s[2:3], s[10:11], s[2:3]
	s_load_b64 s[2:3], s[2:3], 0x0
	s_load_b64 s[0:1], s[0:1], 0x20
	s_wait_kmcnt 0x0
	v_mul_lo_u32 v3, s2, v8
	v_mul_lo_u32 v4, s3, v7
	v_mad_co_u64_u32 v[1:2], null, s2, v7, v[1:2]
	v_cmp_gt_u64_e32 vcc_lo, s[0:1], v[7:8]
	s_delay_alu instid0(VALU_DEP_2) | instskip(SKIP_1) | instid1(VALU_DEP_2)
	v_add3_u32 v2, v4, v2, v3
	v_mul_u32_u24_e32 v4, 0xaa, v5
	v_lshlrev_b64_e32 v[2:3], 2, v[1:2]
	s_delay_alu instid0(VALU_DEP_2)
	v_sub_nc_u32_e32 v0, v0, v4
	s_and_saveexec_b32 s1, vcc_lo
	s_cbranch_execz .LBB0_13
; %bb.10:
	v_mov_b32_e32 v1, 0
	s_delay_alu instid0(VALU_DEP_3) | instskip(SKIP_2) | instid1(VALU_DEP_3)
	v_add_co_u32 v4, s0, s8, v2
	s_wait_alu 0xf1ff
	v_add_co_ci_u32_e64 v5, s0, s9, v3, s0
	v_lshlrev_b64_e32 v[6:7], 2, v[0:1]
	s_mov_b32 s2, exec_lo
	s_delay_alu instid0(VALU_DEP_1) | instskip(SKIP_1) | instid1(VALU_DEP_2)
	v_add_co_u32 v6, s0, v4, v6
	s_wait_alu 0xf1ff
	v_add_co_ci_u32_e64 v7, s0, v5, v7, s0
	s_clause 0xb
	global_load_b32 v8, v[6:7], off
	global_load_b32 v9, v[6:7], off offset:680
	global_load_b32 v10, v[6:7], off offset:1360
	;; [unrolled: 1-line block ×11, first 2 shown]
	v_lshl_add_u32 v7, v0, 2, 0
	s_delay_alu instid0(VALU_DEP_1)
	v_add_nc_u32_e32 v20, 0xa00, v7
	v_add_nc_u32_e32 v19, 0x400, v7
	;; [unrolled: 1-line block ×5, first 2 shown]
	s_wait_loadcnt 0xa
	ds_store_2addr_b32 v7, v8, v9 offset1:170
	s_wait_loadcnt 0x8
	ds_store_2addr_b32 v19, v10, v11 offset0:84 offset1:254
	s_wait_loadcnt 0x6
	ds_store_2addr_b32 v20, v12, v13 offset0:40 offset1:210
	;; [unrolled: 2-line block ×5, first 2 shown]
	v_cmpx_eq_u32_e32 0xa9, v0
	s_cbranch_execz .LBB0_12
; %bb.11:
	global_load_b32 v4, v[4:5], off offset:8160
	v_mov_b32_e32 v0, 0xa9
	s_wait_loadcnt 0x0
	ds_store_b32 v1, v4 offset:8160
.LBB0_12:
	s_wait_alu 0xfffe
	s_or_b32 exec_lo, exec_lo, s2
.LBB0_13:
	s_wait_alu 0xfffe
	s_or_b32 exec_lo, exec_lo, s1
	v_lshlrev_b32_e32 v1, 2, v0
	global_wb scope:SCOPE_SE
	s_wait_dscnt 0x0
	s_barrier_signal -1
	s_barrier_wait -1
	global_inv scope:SCOPE_SE
	v_add_nc_u32_e32 v25, 0, v1
	v_sub_nc_u32_e32 v6, 0, v1
	s_mov_b32 s1, exec_lo
                                        ; implicit-def: $vgpr4_vgpr5
	ds_load_u16 v9, v25
	ds_load_u16 v10, v6 offset:8160
	s_wait_dscnt 0x0
	v_add_f16_e32 v8, v10, v9
	v_sub_f16_e32 v7, v9, v10
	v_cmpx_ne_u32_e32 0, v0
	s_wait_alu 0xfffe
	s_xor_b32 s1, exec_lo, s1
	s_cbranch_execz .LBB0_15
; %bb.14:
	v_mov_b32_e32 v1, 0
	v_add_f16_e32 v8, v10, v9
	v_sub_f16_e32 v9, v9, v10
	s_delay_alu instid0(VALU_DEP_3) | instskip(NEXT) | instid1(VALU_DEP_1)
	v_lshlrev_b64_e32 v[4:5], 2, v[0:1]
	v_add_co_u32 v4, s0, s4, v4
	s_wait_alu 0xf1ff
	s_delay_alu instid0(VALU_DEP_2)
	v_add_co_ci_u32_e64 v5, s0, s5, v5, s0
	global_load_b32 v4, v[4:5], off offset:8092
	ds_load_u16 v5, v6 offset:8162
	ds_load_u16 v7, v25 offset:2
	s_wait_dscnt 0x0
	v_add_f16_e32 v10, v5, v7
	v_sub_f16_e32 v5, v7, v5
	s_wait_loadcnt 0x0
	v_lshrrev_b32_e32 v11, 16, v4
	s_delay_alu instid0(VALU_DEP_1) | instskip(NEXT) | instid1(VALU_DEP_3)
	v_fma_f16 v12, -v9, v11, v8
	v_fma_f16 v13, v10, v11, -v5
	v_fma_f16 v7, v10, v11, v5
	v_fma_f16 v8, v9, v11, v8
	s_delay_alu instid0(VALU_DEP_4) | instskip(NEXT) | instid1(VALU_DEP_4)
	v_fmac_f16_e32 v12, v4, v10
	v_fmac_f16_e32 v13, v9, v4
	s_delay_alu instid0(VALU_DEP_4) | instskip(NEXT) | instid1(VALU_DEP_4)
	v_fmac_f16_e32 v7, v9, v4
	v_fma_f16 v8, -v4, v10, v8
	v_dual_mov_b32 v5, v1 :: v_dual_mov_b32 v4, v0
	s_delay_alu instid0(VALU_DEP_4)
	v_pack_b32_f16 v9, v12, v13
	ds_store_b32 v6, v9 offset:8160
.LBB0_15:
	s_wait_alu 0xfffe
	s_and_not1_saveexec_b32 s0, s1
	s_cbranch_execz .LBB0_17
; %bb.16:
	v_mov_b32_e32 v1, 0
	ds_load_b32 v4, v1 offset:4080
	s_wait_dscnt 0x0
	v_pk_mul_f16 v9, 0xc0004000, v4
	v_mov_b32_e32 v4, 0
	v_mov_b32_e32 v5, 0
	ds_store_b32 v1, v9 offset:4080
.LBB0_17:
	s_wait_alu 0xfffe
	s_or_b32 exec_lo, exec_lo, s0
	v_lshlrev_b64_e32 v[4:5], 2, v[4:5]
	s_add_nc_u64 s[0:1], s[4:5], 0x1f9c
	v_add_nc_u32_e32 v31, 0x1a00, v25
	v_add_nc_u32_e32 v30, 0x600, v25
	;; [unrolled: 1-line block ×3, first 2 shown]
	s_wait_alu 0xfffe
	v_add_co_u32 v4, s0, s0, v4
	s_wait_alu 0xf1ff
	v_add_co_ci_u32_e64 v5, s0, s1, v5, s0
	s_mov_b32 s1, exec_lo
	s_clause 0x4
	global_load_b32 v1, v[4:5], off offset:680
	global_load_b32 v9, v[4:5], off offset:1360
	;; [unrolled: 1-line block ×5, first 2 shown]
	v_perm_b32 v5, v7, v8, 0x5040100
	ds_store_b32 v25, v5
	ds_load_b32 v5, v25 offset:680
	ds_load_b32 v7, v6 offset:7480
	s_wait_dscnt 0x1
	v_lshrrev_b32_e32 v8, 16, v5
	s_wait_dscnt 0x0
	v_lshrrev_b32_e32 v12, 16, v7
	v_add_f16_e32 v13, v5, v7
	v_sub_f16_e32 v5, v5, v7
	s_delay_alu instid0(VALU_DEP_3) | instskip(SKIP_3) | instid1(VALU_DEP_1)
	v_add_f16_e32 v7, v12, v8
	v_sub_f16_e32 v8, v8, v12
	s_wait_loadcnt 0x4
	v_lshrrev_b32_e32 v14, 16, v1
	v_fma_f16 v12, v5, v14, v13
	s_delay_alu instid0(VALU_DEP_3) | instskip(SKIP_2) | instid1(VALU_DEP_4)
	v_fma_f16 v15, v7, v14, v8
	v_fma_f16 v13, -v5, v14, v13
	v_fma_f16 v8, v7, v14, -v8
	v_fma_f16 v12, -v1, v7, v12
	s_delay_alu instid0(VALU_DEP_4) | instskip(NEXT) | instid1(VALU_DEP_4)
	v_fmac_f16_e32 v15, v5, v1
	v_fmac_f16_e32 v13, v1, v7
	s_delay_alu instid0(VALU_DEP_4) | instskip(NEXT) | instid1(VALU_DEP_3)
	v_fmac_f16_e32 v8, v5, v1
	v_pack_b32_f16 v1, v12, v15
	s_wait_loadcnt 0x3
	v_lshrrev_b32_e32 v12, 16, v9
	s_delay_alu instid0(VALU_DEP_3)
	v_pack_b32_f16 v5, v13, v8
	ds_store_b32 v25, v1 offset:680
	ds_store_b32 v6, v5 offset:7480
	ds_load_b32 v1, v25 offset:1360
	ds_load_b32 v5, v6 offset:6800
	s_wait_dscnt 0x1
	v_lshrrev_b32_e32 v7, 16, v1
	s_wait_dscnt 0x0
	v_lshrrev_b32_e32 v8, 16, v5
	v_add_f16_e32 v13, v1, v5
	v_sub_f16_e32 v1, v1, v5
	s_delay_alu instid0(VALU_DEP_3) | instskip(SKIP_1) | instid1(VALU_DEP_3)
	v_add_f16_e32 v5, v8, v7
	v_sub_f16_e32 v7, v7, v8
	v_fma_f16 v8, v1, v12, v13
	v_fma_f16 v13, -v1, v12, v13
	s_delay_alu instid0(VALU_DEP_3) | instskip(SKIP_1) | instid1(VALU_DEP_4)
	v_fma_f16 v14, v5, v12, v7
	v_fma_f16 v7, v5, v12, -v7
	v_fma_f16 v8, -v9, v5, v8
	s_delay_alu instid0(VALU_DEP_4) | instskip(NEXT) | instid1(VALU_DEP_4)
	v_fmac_f16_e32 v13, v9, v5
	v_fmac_f16_e32 v14, v1, v9
	s_delay_alu instid0(VALU_DEP_4) | instskip(SKIP_2) | instid1(VALU_DEP_3)
	v_fmac_f16_e32 v7, v1, v9
	s_wait_loadcnt 0x2
	v_lshrrev_b32_e32 v9, 16, v10
	v_pack_b32_f16 v1, v8, v14
	s_delay_alu instid0(VALU_DEP_3)
	v_pack_b32_f16 v5, v13, v7
	ds_store_b32 v25, v1 offset:1360
	ds_store_b32 v6, v5 offset:6800
	ds_load_b32 v1, v25 offset:2040
	ds_load_b32 v5, v6 offset:6120
	s_wait_dscnt 0x1
	v_lshrrev_b32_e32 v7, 16, v1
	s_wait_dscnt 0x0
	v_lshrrev_b32_e32 v8, 16, v5
	v_add_f16_e32 v12, v1, v5
	v_sub_f16_e32 v1, v1, v5
	s_delay_alu instid0(VALU_DEP_3) | instskip(SKIP_1) | instid1(VALU_DEP_3)
	v_add_f16_e32 v5, v8, v7
	v_sub_f16_e32 v7, v7, v8
	v_fma_f16 v8, v1, v9, v12
	v_fma_f16 v12, -v1, v9, v12
	s_delay_alu instid0(VALU_DEP_3) | instskip(SKIP_1) | instid1(VALU_DEP_4)
	v_fma_f16 v13, v5, v9, v7
	v_fma_f16 v7, v5, v9, -v7
	v_fma_f16 v8, -v10, v5, v8
	s_delay_alu instid0(VALU_DEP_4) | instskip(SKIP_4) | instid1(VALU_DEP_2)
	v_fmac_f16_e32 v12, v10, v5
	s_wait_loadcnt 0x1
	v_lshrrev_b32_e32 v9, 16, v11
	v_fmac_f16_e32 v13, v1, v10
	v_fmac_f16_e32 v7, v1, v10
	v_pack_b32_f16 v1, v8, v13
	s_delay_alu instid0(VALU_DEP_2)
	v_pack_b32_f16 v5, v12, v7
	ds_store_b32 v25, v1 offset:2040
	ds_store_b32 v6, v5 offset:6120
	ds_load_b32 v1, v25 offset:2720
	ds_load_b32 v5, v6 offset:5440
	s_wait_dscnt 0x1
	v_lshrrev_b32_e32 v7, 16, v1
	s_wait_dscnt 0x0
	v_lshrrev_b32_e32 v8, 16, v5
	v_add_f16_e32 v10, v1, v5
	v_sub_f16_e32 v1, v1, v5
	s_delay_alu instid0(VALU_DEP_3) | instskip(SKIP_1) | instid1(VALU_DEP_3)
	v_add_f16_e32 v5, v8, v7
	v_sub_f16_e32 v7, v7, v8
	v_fma_f16 v8, v1, v9, v10
	v_fma_f16 v10, -v1, v9, v10
	s_delay_alu instid0(VALU_DEP_3) | instskip(SKIP_1) | instid1(VALU_DEP_4)
	v_fma_f16 v12, v5, v9, v7
	v_fma_f16 v7, v5, v9, -v7
	v_fma_f16 v8, -v11, v5, v8
	s_delay_alu instid0(VALU_DEP_4) | instskip(SKIP_4) | instid1(VALU_DEP_2)
	v_fmac_f16_e32 v10, v11, v5
	s_wait_loadcnt 0x0
	v_lshrrev_b32_e32 v9, 16, v4
	v_fmac_f16_e32 v12, v1, v11
	v_fmac_f16_e32 v7, v1, v11
	v_pack_b32_f16 v1, v8, v12
	s_delay_alu instid0(VALU_DEP_2)
	v_pack_b32_f16 v5, v10, v7
	ds_store_b32 v25, v1 offset:2720
	ds_store_b32 v6, v5 offset:5440
	ds_load_b32 v1, v25 offset:3400
	ds_load_b32 v5, v6 offset:4760
	s_wait_dscnt 0x1
	v_lshrrev_b32_e32 v7, 16, v1
	s_wait_dscnt 0x0
	v_lshrrev_b32_e32 v8, 16, v5
	v_add_f16_e32 v10, v1, v5
	v_sub_f16_e32 v1, v1, v5
	s_delay_alu instid0(VALU_DEP_3) | instskip(SKIP_1) | instid1(VALU_DEP_3)
	v_add_f16_e32 v5, v8, v7
	v_sub_f16_e32 v7, v7, v8
	v_fma_f16 v8, v1, v9, v10
	v_fma_f16 v10, -v1, v9, v10
	s_delay_alu instid0(VALU_DEP_3) | instskip(SKIP_1) | instid1(VALU_DEP_4)
	v_fma_f16 v11, v5, v9, v7
	v_fma_f16 v7, v5, v9, -v7
	v_fma_f16 v8, -v4, v5, v8
	s_delay_alu instid0(VALU_DEP_4) | instskip(NEXT) | instid1(VALU_DEP_4)
	v_fmac_f16_e32 v10, v4, v5
	v_fmac_f16_e32 v11, v1, v4
	s_delay_alu instid0(VALU_DEP_4) | instskip(SKIP_1) | instid1(VALU_DEP_3)
	v_fmac_f16_e32 v7, v1, v4
	v_add_nc_u32_e32 v1, 0x1600, v25
	v_pack_b32_f16 v4, v8, v11
	s_delay_alu instid0(VALU_DEP_3)
	v_pack_b32_f16 v5, v10, v7
	v_add_nc_u32_e32 v7, 0x200, v25
	ds_store_b32 v25, v4 offset:3400
	ds_store_b32 v6, v5 offset:4760
	global_wb scope:SCOPE_SE
	s_wait_dscnt 0x0
	s_barrier_signal -1
	s_barrier_wait -1
	global_inv scope:SCOPE_SE
	global_wb scope:SCOPE_SE
	s_barrier_signal -1
	s_barrier_wait -1
	global_inv scope:SCOPE_SE
	ds_load_2addr_b32 v[19:20], v25 offset1:120
	ds_load_b32 v33, v25 offset:7680
	ds_load_2addr_b32 v[9:10], v31 offset0:16 offset1:136
	ds_load_2addr_b32 v[23:24], v7 offset0:112 offset1:232
	;; [unrolled: 1-line block ×4, first 2 shown]
	v_add_nc_u32_e32 v4, 0x1200, v25
	v_add_nc_u32_e32 v1, 0xe00, v25
	ds_load_2addr_b32 v[17:18], v32 offset0:80 offset1:200
	ds_load_2addr_b32 v[13:14], v4 offset0:48 offset1:168
	;; [unrolled: 1-line block ×3, first 2 shown]
	global_wb scope:SCOPE_SE
	s_wait_dscnt 0x0
	s_barrier_signal -1
	s_barrier_wait -1
	global_inv scope:SCOPE_SE
	v_lshrrev_b32_e32 v51, 16, v19
	v_pk_add_f16 v34, v20, v33 neg_lo:[0,1] neg_hi:[0,1]
	v_pk_add_f16 v36, v33, v20
	v_pk_add_f16 v35, v23, v10 neg_lo:[0,1] neg_hi:[0,1]
	v_pk_add_f16 v38, v10, v23
	v_pk_add_f16 v41, v12, v21
	v_lshrrev_b32_e32 v147, 16, v34
	v_pk_mul_f16 v1, 0x3b7639e9, v36
	v_lshrrev_b32_e32 v146, 16, v35
	v_lshrrev_b32_e32 v126, 16, v36
	v_mul_f16_e64 v128, 0xbbb2, v34
	v_mul_f16_e64 v103, 0xbb29, v147
	v_pk_add_f16 v39, v9, v24
	v_pk_add_f16 v37, v24, v9 neg_lo:[0,1] neg_hi:[0,1]
	v_pk_add_f16 v40, v21, v12 neg_lo:[0,1] neg_hi:[0,1]
	v_pk_add_f16 v43, v11, v22
	v_pk_add_f16 v45, v14, v17
	v_pk_mul_f16 v4, 0x39e92de8, v38
	v_pk_mul_f16 v6, 0x2de8bbdd, v41
	v_lshrrev_b32_e32 v121, 16, v38
	v_mul_f16_e32 v101, 0xbbf7, v34
	v_mul_f16_e32 v124, 0x3836, v35
	v_pk_fma_f16 v59, 0xb964b5c8, v34, v1 op_sel:[0,0,1] op_sel_hi:[1,1,0]
	v_mul_f16_e64 v120, 0xbbf7, v147
	v_mul_f16_e64 v100, 0xba62, v146
	v_fma_f16 v151, v126, 0xb461, -v128
	v_pk_fma_f16 v93, 0xb964b5c8, v34, v1 op_sel:[0,0,1] op_sel_hi:[1,1,0] neg_lo:[0,1,0] neg_hi:[0,1,0]
	v_fmamk_f16 v1, v36, 0x3722, v103
	v_pk_add_f16 v42, v22, v11 neg_lo:[0,1] neg_hi:[0,1]
	v_pk_add_f16 v44, v17, v14 neg_lo:[0,1] neg_hi:[0,1]
	v_pk_add_f16 v47, v13, v18
	v_pk_add_f16 v49, v16, v15
	v_pk_mul_f16 v5, 0x3722b8d2, v39
	v_pk_mul_f16 v7, 0xb461bacd, v43
	;; [unrolled: 1-line block ×3, first 2 shown]
	v_mul_f16_e32 v54, 0xb964, v34
	v_mul_f16_e32 v69, 0xbb29, v34
	;; [unrolled: 1-line block ×3, first 2 shown]
	v_lshrrev_b32_e32 v118, 16, v39
	v_mul_f16_e32 v127, 0x3964, v37
	v_mul_f16_e64 v138, 0xbbb2, v147
	v_pk_fma_f16 v60, 0xbbf7b964, v35, v4 op_sel:[0,0,1] op_sel_hi:[1,1,0]
	v_mul_f16_e64 v119, 0xb1e1, v146
	v_pk_fma_f16 v62, 0xb1e1bbf7, v40, v6 op_sel:[0,0,1] op_sel_hi:[1,1,0]
	v_fma_f16 v149, v126, 0x2de8, -v101
	v_fma_f16 v152, v121, 0xbacd, -v124
	v_mul_f16_e64 v86, 0xb5c8, v147
	v_pk_fma_f16 v87, 0xbbf7b964, v35, v4 op_sel:[0,0,1] op_sel_hi:[1,1,0] neg_lo:[0,1,0] neg_hi:[0,1,0]
	v_pk_fma_f16 v91, 0xb1e1bbf7, v40, v6 op_sel:[0,0,1] op_sel_hi:[1,1,0] neg_lo:[0,1,0] neg_hi:[0,1,0]
	v_fmamk_f16 v4, v36, 0x2de8, v120
	v_fmamk_f16 v6, v38, 0xb8d2, v100
	v_add_f16_e64 v151, v51, v151
	v_add_f16_e32 v1, v19, v1
	v_pk_add_f16 v46, v18, v13 neg_lo:[0,1] neg_hi:[0,1]
	v_pk_add_f16 v48, v15, v16 neg_lo:[0,1] neg_hi:[0,1]
	v_lshrrev_b32_e32 v145, 16, v37
	v_pk_mul_f16 v26, 0xbacd3722, v47
	v_pk_mul_f16 v27, 0xbbdd3b76, v49
	v_mul_f16_e32 v50, 0xbbf7, v35
	v_mul_f16_e32 v67, 0xba62, v35
	;; [unrolled: 1-line block ×3, first 2 shown]
	v_mul_f16_e64 v137, 0x3836, v146
	v_pk_fma_f16 v61, 0xba62bb29, v37, v5 op_sel:[0,0,1] op_sel_hi:[1,1,0]
	v_pk_fma_f16 v63, 0x3836bbb2, v42, v7 op_sel:[0,0,1] op_sel_hi:[1,1,0]
	v_pk_fma_f16 v64, 0x3bb2ba62, v44, v8 op_sel:[0,0,1] op_sel_hi:[1,1,0]
	v_fma_f16 v28, v126, 0x39e9, -v54
	v_fma_f16 v139, v126, 0x3722, -v69
	;; [unrolled: 1-line block ×3, first 2 shown]
	v_mul_f16_e64 v82, 0xb964, v146
	v_fma_f16 v156, v118, 0x39e9, -v127
	v_pk_fma_f16 v88, 0xba62bb29, v37, v5 op_sel:[0,0,1] op_sel_hi:[1,1,0] neg_lo:[0,1,0] neg_hi:[0,1,0]
	v_pk_fma_f16 v89, 0x3836bbb2, v42, v7 op_sel:[0,0,1] op_sel_hi:[1,1,0] neg_lo:[0,1,0] neg_hi:[0,1,0]
	v_pk_fma_f16 v90, 0x3bb2ba62, v44, v8 op_sel:[0,0,1] op_sel_hi:[1,1,0] neg_lo:[0,1,0] neg_hi:[0,1,0]
	v_fma_f16 v5, 0xb461, v36, v138
	v_fmamk_f16 v7, v38, 0xbbdd, v119
	v_lshrrev_b32_e32 v8, 16, v59
	v_add_f16_e64 v149, v51, v149
	v_add_f16_e64 v151, v152, v151
	v_add_f16_e32 v4, v19, v4
	v_add_f16_e32 v1, v6, v1
	v_fmamk_f16 v6, v36, 0x3b76, v86
	v_lshrrev_b32_e32 v143, 16, v40
	v_mul_f16_e32 v52, 0xba62, v37
	v_mul_f16_e32 v71, 0x31e1, v37
	v_mul_f16_e64 v99, 0x31e1, v145
	v_mul_f16_e64 v117, 0x3bb2, v145
	;; [unrolled: 1-line block ×3, first 2 shown]
	v_pk_fma_f16 v66, 0x3b29b836, v46, v26 op_sel:[0,0,1] op_sel_hi:[1,1,0]
	v_pk_fma_f16 v65, 0x35c8b1e1, v48, v27 op_sel:[0,0,1] op_sel_hi:[1,1,0]
	v_fma_f16 v29, v121, 0x2de8, -v50
	v_fma_f16 v148, v121, 0xb8d2, -v67
	;; [unrolled: 1-line block ×3, first 2 shown]
	v_mul_f16_e64 v81, 0xbb29, v145
	v_pk_fma_f16 v92, 0x3b29b836, v46, v26 op_sel:[0,0,1] op_sel_hi:[1,1,0] neg_lo:[0,1,0] neg_hi:[0,1,0]
	v_pk_fma_f16 v85, 0x35c8b1e1, v48, v27 op_sel:[0,0,1] op_sel_hi:[1,1,0] neg_lo:[0,1,0] neg_hi:[0,1,0]
	v_fma_f16 v26, 0xbacd, v38, v137
	v_lshrrev_b32_e32 v27, 16, v60
	v_add_f16_e32 v28, v51, v28
	v_add_f16_e64 v139, v51, v139
	v_add_f16_e64 v149, v150, v149
	v_add_f16_e32 v8, v19, v8
	v_add_f16_e32 v5, v19, v5
	;; [unrolled: 1-line block ×3, first 2 shown]
	v_fmamk_f16 v7, v38, 0x39e9, v82
	v_add_f16_e32 v6, v19, v6
	v_add_f16_e64 v151, v156, v151
	v_add_f16_e64 v156, v51, v93
	v_lshrrev_b32_e32 v144, 16, v42
	v_lshrrev_b32_e32 v116, 16, v41
	v_mul_f16_e32 v53, 0xb1e1, v40
	v_mul_f16_e32 v73, 0x3bb2, v40
	;; [unrolled: 1-line block ×4, first 2 shown]
	v_mul_f16_e64 v95, 0x3bb2, v143
	v_mul_f16_e64 v114, 0x35c8, v143
	v_mul_f16_e64 v135, 0xbb29, v143
	v_fma_f16 v153, v118, 0xb8d2, -v52
	v_fma_f16 v154, v118, 0xbbdd, -v71
	v_mul_f16_e64 v80, 0xbbf7, v143
	v_fma_f16 v177, 0xbbdd, v39, v99
	v_fma_f16 v178, 0xb461, v39, v117
	v_lshrrev_b32_e32 v179, 16, v61
	v_fma_f16 v180, 0x39e9, v39, v136
	v_add_f16_e32 v28, v29, v28
	v_add_f16_e64 v139, v148, v139
	v_add_f16_e32 v8, v27, v8
	v_add_f16_e32 v5, v26, v5
	;; [unrolled: 1-line block ×3, first 2 shown]
	v_add_f16_e64 v149, v155, v149
	v_fma_f16 v155, 0x3722, v39, v81
	v_add_f16_e64 v156, v87, v156
	v_lshrrev_b32_e32 v142, 16, v44
	v_lshrrev_b32_e32 v115, 16, v43
	v_mul_f16_e32 v55, 0x3836, v42
	v_mul_f16_e32 v74, 0x3964, v42
	;; [unrolled: 1-line block ×4, first 2 shown]
	v_mul_f16_e64 v77, 0x3964, v144
	v_mul_f16_e64 v113, 0xbb29, v144
	;; [unrolled: 1-line block ×3, first 2 shown]
	v_fma_f16 v157, v116, 0xbbdd, -v53
	v_fma_f16 v158, v116, 0xb461, -v73
	;; [unrolled: 1-line block ×4, first 2 shown]
	v_mul_f16_e64 v79, 0xbbb2, v144
	v_fma_f16 v181, 0xb461, v41, v95
	v_lshrrev_b32_e32 v182, 16, v62
	v_fma_f16 v183, 0x3b76, v41, v114
	v_fma_f16 v184, 0x3722, v41, v135
	v_add_f16_e64 v26, v153, v28
	v_add_f16_e64 v28, v154, v139
	;; [unrolled: 1-line block ×6, first 2 shown]
	v_fma_f16 v178, 0x2de8, v41, v80
	v_add_f16_e64 v6, v155, v6
	v_add_f16_e64 v156, v88, v156
	v_lshrrev_b32_e32 v141, 16, v46
	v_lshrrev_b32_e32 v111, 16, v45
	v_mul_f16_e32 v56, 0x3bb2, v44
	v_mul_f16_e32 v84, 0xb5c8, v44
	;; [unrolled: 1-line block ×4, first 2 shown]
	v_mul_f16_e64 v75, 0xb5c8, v142
	v_mul_f16_e64 v112, 0xb836, v142
	;; [unrolled: 1-line block ×3, first 2 shown]
	v_fma_f16 v161, v115, 0xbacd, -v55
	v_fma_f16 v162, v115, 0x39e9, -v74
	;; [unrolled: 1-line block ×4, first 2 shown]
	v_mul_f16_e64 v78, 0xba62, v142
	v_lshrrev_b32_e32 v185, 16, v63
	v_fma_f16 v186, 0x39e9, v43, v77
	v_fma_f16 v187, 0x3722, v43, v113
	;; [unrolled: 1-line block ×4, first 2 shown]
	v_add_f16_e64 v26, v157, v26
	v_add_f16_e64 v28, v158, v28
	;; [unrolled: 1-line block ×10, first 2 shown]
	v_lshrrev_b32_e32 v140, 16, v48
	v_lshrrev_b32_e32 v109, 16, v47
	v_mul_f16_e32 v57, 0x3b29, v46
	v_mul_f16_e32 v83, 0xbbf7, v46
	;; [unrolled: 1-line block ×3, first 2 shown]
	v_mul_f16_e64 v129, 0xb5c8, v46
	v_mul_f16_e64 v72, 0xbbf7, v141
	;; [unrolled: 1-line block ×4, first 2 shown]
	v_fma_f16 v165, v111, 0xb461, -v56
	v_fma_f16 v166, v111, 0x3b76, -v84
	;; [unrolled: 1-line block ×4, first 2 shown]
	v_mul_f16_e64 v76, 0xb836, v141
	v_lshrrev_b32_e32 v188, 16, v64
	v_fmamk_f16 v29, v45, 0x3b76, v75
	v_fmamk_f16 v7, v45, 0xbacd, v112
	v_fma_f16 v27, 0x2de8, v45, v133
	v_fma_f16 v157, 0xb8d2, v45, v78
	v_add_f16_e64 v26, v161, v26
	v_add_f16_e64 v28, v162, v28
	;; [unrolled: 1-line block ×10, first 2 shown]
	v_lshrrev_b32_e32 v107, 16, v49
	v_mul_f16_e32 v58, 0x35c8, v48
	v_mul_f16_e32 v68, 0xb836, v48
	;; [unrolled: 1-line block ×3, first 2 shown]
	v_mul_f16_e64 v131, 0xba62, v48
	v_mul_f16_e64 v70, 0xb836, v140
	;; [unrolled: 1-line block ×4, first 2 shown]
	v_fma_f16 v169, v109, 0x3722, -v57
	v_fma_f16 v170, v109, 0x2de8, -v83
	;; [unrolled: 1-line block ×4, first 2 shown]
	v_mul_f16_e64 v94, 0xb1e1, v140
	v_lshrrev_b32_e32 v150, 16, v66
	v_fma_f16 v152, 0x2de8, v47, v72
	v_fma_f16 v139, 0xb8d2, v47, v110
	;; [unrolled: 1-line block ×4, first 2 shown]
	v_add_f16_e64 v26, v165, v26
	v_add_f16_e64 v28, v166, v28
	;; [unrolled: 1-line block ×6, first 2 shown]
	v_add_f16_e32 v1, v29, v1
	v_add_f16_e32 v4, v7, v4
	v_add_f16_e32 v5, v27, v5
	v_add_f16_e64 v6, v157, v6
	v_fma_f16 v173, v107, 0x3b76, -v58
	v_fma_f16 v174, v107, 0xbacd, -v68
	;; [unrolled: 1-line block ×4, first 2 shown]
	v_lshrrev_b32_e32 v189, 16, v65
	v_fma_f16 v190, 0xbacd, v49, v70
	v_fma_f16 v154, 0x39e9, v49, v108
	;; [unrolled: 1-line block ×4, first 2 shown]
	v_add_f16_e64 v7, v169, v26
	v_add_f16_e64 v26, v170, v28
	;; [unrolled: 1-line block ×20, first 2 shown]
	v_cmpx_gt_u32_e32 0x78, v0
	s_cbranch_execz .LBB0_19
; %bb.18:
	v_mul_f16_e64 v148, 0xb8d2, v126
	v_mul_f16_e64 v149, 0xba62, v147
	;; [unrolled: 1-line block ×5, first 2 shown]
	v_fma_f16 v139, 0x3a62, v34, v148
	v_fma_f16 v154, 0xb8d2, v36, v149
	v_mul_f16_e64 v153, 0xb5c8, v145
	v_fma_f16 v156, 0xbbb2, v35, v150
	v_fma_f16 v157, 0xb461, v38, v152
	v_add_f16_e64 v139, v51, v139
	v_add_f16_e64 v154, v19, v154
	v_mul_f16_e64 v155, 0xbacd, v116
	v_mul_f16_e64 v158, 0xb836, v143
	v_fma_f16 v159, 0x35c8, v37, v151
	v_add_f16_e64 v139, v156, v139
	v_fma_f16 v156, 0x3b76, v39, v153
	v_add_f16_e64 v154, v157, v154
	v_mul_f16_e64 v157, 0x2de8, v115
	v_fma_f16 v160, 0x3836, v40, v155
	v_add_f16_e64 v139, v159, v139
	v_fma_f16 v159, 0xbacd, v41, v158
	v_add_f16_e64 v154, v156, v154
	v_mul_f16_e64 v156, 0x3bf7, v144
	v_fma_f16 v161, 0xbbf7, v42, v157
	v_add_f16_e64 v139, v160, v139
	v_mul_f16_e64 v162, 0xb964, v142
	v_add_f16_e64 v154, v159, v154
	v_mul_f16_e64 v159, 0x39e9, v111
	v_fma_f16 v160, 0x2de8, v43, v156
	v_mul_f16_e64 v163, 0xbacd, v126
	v_add_f16_e64 v139, v161, v139
	v_mul_f16_e64 v165, 0x3722, v121
	v_fma_f16 v161, 0x3964, v44, v159
	v_add_f16_e64 v154, v160, v154
	v_fma_f16 v160, 0x39e9, v45, v162
	v_fma_f16 v164, 0x3836, v34, v163
	v_mul_f16_e64 v166, 0x2de8, v118
	v_add_f16_e64 v139, v161, v139
	v_mul_f16_e64 v161, 0xbbdd, v109
	v_add_f16_e64 v154, v160, v154
	v_add_f16_e64 v160, v51, v164
	v_fma_f16 v164, 0xbb29, v35, v165
	v_mul_f16_e64 v168, 0xb1e1, v141
	v_fma_f16 v167, 0x31e1, v46, v161
	v_mul_f16_e64 v170, 0xb8d2, v116
	v_mul_f16_e64 v169, 0x3722, v107
	v_add_f16_e64 v160, v164, v160
	v_fma_f16 v164, 0x3bf7, v37, v166
	v_add_f16_e64 v139, v167, v139
	v_fma_f16 v167, 0xbbdd, v47, v168
	v_mul_f16_e64 v172, 0x3b76, v115
	v_mul_f16_e64 v147, 0xb836, v147
	v_add_f16_e64 v160, v164, v160
	v_fma_f16 v164, 0xba62, v40, v170
	v_fma_f16 v171, 0xbb29, v48, v169
	v_add_f16_e64 v154, v167, v154
	v_mul_f16_e64 v167, 0xbbdd, v111
	v_fma_f16 v173, 0xbacd, v36, v147
	v_add_f16_e64 v160, v164, v160
	v_fma_f16 v164, 0x35c8, v42, v172
	v_mul_f16_e64 v146, 0x3b29, v146
	v_fma_f16 v147, v36, 0xbacd, -v147
	v_add_f16_e64 v139, v171, v139
	v_mul_f16_e64 v171, 0x3b29, v140
	v_add_f16_e64 v160, v164, v160
	v_fma_f16 v164, 0x31e1, v44, v167
	v_mul_f16_e64 v174, 0x39e9, v109
	v_add_f16_e64 v173, v19, v173
	v_fma_f16 v175, 0x3722, v38, v146
	v_mul_f16_e64 v145, 0xbbf7, v145
	v_add_f16_e64 v147, v19, v147
	v_fma_f16 v146, v38, 0x3722, -v146
	v_add_f16_e64 v160, v164, v160
	v_fma_f16 v164, 0xb964, v46, v174
	v_mul_f16_e64 v176, 0xb461, v107
	v_add_f16_e64 v173, v175, v173
	v_fma_f16 v175, 0x2de8, v39, v145
	v_mul_f16_e64 v177, 0x3a62, v143
	v_fma_f16 v143, 0x3722, v49, v171
	v_add_f16_e64 v146, v146, v147
	v_fma_f16 v145, v39, 0x2de8, -v145
	v_add_f16_e64 v160, v164, v160
	v_fma_f16 v164, 0x3bb2, v48, v176
	v_add_f16_e64 v173, v175, v173
	v_fma_f16 v175, 0xb8d2, v41, v177
	v_add_f16_e64 v143, v143, v154
	v_mul_f16_e64 v154, 0xb5c8, v144
	v_fmac_f16_e64 v163, 0xb836, v34
	v_add_f16_e64 v145, v145, v146
	v_fma_f16 v146, v41, 0xb8d2, -v177
	v_add_f16_e64 v144, v164, v160
	v_add_f16_e64 v160, v175, v173
	v_fma_f16 v164, 0x3b76, v43, v154
	v_mul_f16_e64 v142, 0xb1e1, v142
	v_add_f16_e64 v163, v51, v163
	v_fmac_f16_e64 v165, 0x3b29, v35
	v_add_f16_e64 v145, v146, v145
	v_fma_f16 v146, v43, 0x3b76, -v154
	v_add_f16_e64 v160, v164, v160
	v_fma_f16 v164, 0xbbdd, v45, v142
	v_add_f16_e64 v163, v165, v163
	v_fmac_f16_e64 v166, 0xbbf7, v37
	v_mul_f16_e64 v141, 0x3964, v141
	v_add_f16_e64 v145, v146, v145
	v_fma_f16 v142, v45, 0xbbdd, -v142
	v_add_f16_e64 v147, v164, v160
	v_add_f16_e64 v160, v166, v163
	v_fma_f16 v163, 0x39e9, v47, v141
	v_fma_f16 v141, v47, 0x39e9, -v141
	v_add_f16_e64 v142, v142, v145
	v_fmac_f16_e64 v148, 0xba62, v34
	v_fmac_f16_e64 v150, 0x3bb2, v35
	;; [unrolled: 1-line block ×4, first 2 shown]
	v_add_f16_e64 v141, v141, v142
	v_fma_f16 v142, v36, 0xb8d2, -v149
	v_add_f16_e64 v145, v51, v148
	v_fma_f16 v148, v38, 0xb461, -v152
	v_mul_f16_e64 v164, 0xbbb2, v140
	v_fmac_f16_e64 v155, 0xb836, v40
	v_add_f16_e64 v142, v19, v142
	v_add_f16_e64 v145, v150, v145
	;; [unrolled: 1-line block ×3, first 2 shown]
	v_fmac_f16_e64 v172, 0xb5c8, v42
	v_add_f16_e64 v147, v163, v147
	v_add_f16_e64 v142, v148, v142
	v_fma_f16 v148, v39, 0x3b76, -v153
	v_add_f16_e64 v145, v151, v145
	v_fma_f16 v153, v43, 0x2de8, -v156
	v_fma_f16 v154, 0xb461, v49, v164
	v_fmac_f16_e64 v157, 0x3bf7, v42
	v_add_f16_e64 v142, v148, v142
	v_fma_f16 v148, v41, 0xbacd, -v158
	v_add_f16_e64 v145, v155, v145
	v_fma_f16 v155, v45, 0x39e9, -v162
	v_add_f16_e64 v160, v172, v140
	v_add_f16_e64 v140, v154, v147
	;; [unrolled: 1-line block ×3, first 2 shown]
	v_mul_f16_e64 v150, 0x39e9, v126
	v_add_f16_e64 v145, v157, v145
	v_mul_f16_e64 v152, 0x3722, v126
	v_mul_f16_e64 v154, 0x2de8, v126
	v_add_f16_e64 v142, v153, v142
	v_mul_f16_e32 v126, 0xb461, v126
	v_fma_f16 v157, v47, 0xbbdd, -v168
	v_fmac_f16_e64 v159, 0xb964, v44
	v_mul_f16_e64 v153, 0xb461, v36
	v_add_f16_e64 v142, v155, v142
	v_add_f16_e64 v126, v128, v126
	v_mul_f16_e64 v128, 0xbacd, v121
	v_add_f16_e64 v145, v159, v145
	v_fma_f16 v159, v49, 0x3722, -v171
	v_add_f16_e64 v142, v157, v142
	v_mul_f16_e64 v157, 0x39e9, v118
	v_add_f16_e64 v124, v124, v128
	v_add_f16_e32 v126, v51, v126
	v_sub_f16_e64 v138, v153, v138
	v_add_f16_e64 v142, v159, v142
	v_add_f16_e64 v127, v127, v157
	v_mul_f16_e64 v157, 0xbacd, v38
	v_add_f16_e32 v124, v124, v126
	v_mul_f16_e64 v159, 0x3722, v116
	v_add_f16_e64 v138, v19, v138
	v_pk_add_f16 v20, v19, v20
	v_sub_f16_e64 v137, v157, v137
	v_add_f16_e32 v124, v127, v124
	v_mul_f16_e32 v127, 0x39e9, v39
	v_add_f16_e64 v122, v122, v159
	v_pk_add_f16 v20, v20, v23
	v_add_f16_e64 v137, v137, v138
	v_mul_f16_e64 v138, 0xbbdd, v115
	v_sub_f16_e64 v127, v127, v136
	v_add_f16_e32 v122, v122, v124
	v_mul_f16_e32 v124, 0x3722, v41
	v_pk_add_f16 v20, v20, v24
	v_add_f16_e64 v123, v123, v138
	v_add_f16_e64 v127, v127, v137
	v_mul_f16_e64 v137, 0x2de8, v111
	v_sub_f16_e64 v124, v124, v135
	v_mul_f16_e64 v158, 0xb8d2, v121
	v_add_f16_e32 v122, v123, v122
	v_mul_f16_e32 v123, 0xbbdd, v43
	v_add_f16_e64 v125, v125, v137
	v_add_f16_e32 v124, v124, v127
	v_add_f16_e64 v69, v69, v152
	v_pk_add_f16 v20, v20, v21
	v_sub_f16_e64 v123, v123, v134
	v_add_f16_e32 v122, v125, v122
	v_mul_f16_e32 v125, 0x2de8, v45
	v_mul_f16_e64 v155, 0x2de8, v121
	v_mul_f16_e32 v121, 0xbbdd, v121
	v_add_f16_e32 v123, v123, v124
	v_mul_f16_e32 v124, 0xb8d2, v107
	v_mul_f16_e64 v136, 0xbbdd, v118
	v_mul_f16_e32 v127, 0x3b76, v109
	v_sub_f16_e64 v125, v125, v133
	v_add_f16_e64 v101, v101, v154
	v_add_f16_e64 v124, v131, v124
	v_mul_f16_e64 v131, 0x3b76, v47
	v_add_f16_e32 v69, v51, v69
	v_add_f16_e64 v67, v67, v158
	v_add_f16_e64 v54, v54, v150
	v_pk_add_f16 v20, v20, v22
	v_mul_f16_e64 v149, 0x3b76, v36
	v_mul_f16_e64 v151, 0x3722, v36
	;; [unrolled: 1-line block ×4, first 2 shown]
	v_mul_f16_e32 v118, 0xb461, v118
	v_add_f16_e64 v127, v129, v127
	v_mul_f16_e64 v129, 0xb461, v116
	v_add_f16_e32 v123, v125, v123
	v_sub_f16_e64 v131, v131, v132
	v_add_f16_e32 v97, v97, v121
	v_add_f16_e32 v101, v51, v101
	;; [unrolled: 1-line block ×3, first 2 shown]
	v_add_f16_e64 v69, v71, v136
	v_add_f16_e32 v51, v51, v54
	v_add_f16_e64 v50, v50, v155
	v_pk_add_f16 v17, v20, v17
	v_fma_f16 v147, v49, 0xb461, -v164
	v_mul_f16_e64 v156, 0x39e9, v38
	v_mul_f16_e64 v128, 0xb8d2, v38
	;; [unrolled: 1-line block ×3, first 2 shown]
	v_mul_f16_e32 v116, 0x3b76, v116
	v_mul_f16_e64 v132, 0x39e9, v115
	v_add_f16_e64 v123, v131, v123
	v_mul_f16_e64 v131, 0xb8d2, v49
	v_add_f16_e32 v97, v97, v101
	v_add_f16_e32 v105, v105, v118
	v_sub_f16_e64 v120, v148, v120
	v_add_f16_e32 v67, v69, v67
	v_add_f16_e64 v69, v73, v129
	v_sub_f16_e64 v73, v151, v103
	v_add_f16_e32 v23, v50, v51
	v_add_f16_e64 v50, v52, v157
	v_sub_f16_e64 v21, v149, v86
	v_pk_add_f16 v17, v17, v18
	v_add_f16_e64 v141, v147, v141
	v_alignbit_b32 v147, v19, v19, 16
	v_mul_f16_e64 v153, 0x3722, v39
	v_mul_f16_e64 v159, 0xbbdd, v39
	v_mul_f16_e32 v125, 0xbacd, v115
	v_sub_f16_e64 v130, v131, v130
	v_mul_f16_e64 v131, 0x3b76, v111
	v_add_f16_e32 v97, v105, v97
	v_add_f16_e32 v98, v98, v116
	v_add_f16_e32 v120, v19, v120
	v_add_f16_e32 v67, v69, v67
	v_add_f16_e64 v69, v74, v132
	v_add_f16_e32 v73, v19, v73
	v_sub_f16_e64 v74, v128, v100
	v_add_f16_e32 v23, v50, v23
	v_add_f16_e64 v50, v53, v137
	v_add_f16_e32 v19, v19, v21
	v_sub_f16_e64 v21, v156, v82
	v_pk_add_f16 v15, v17, v15
	v_mul_f16_e64 v135, 0x2de8, v41
	v_mul_f16_e64 v134, 0xb461, v41
	v_mul_f16_e32 v101, 0xb461, v111
	v_add_f16_e32 v97, v98, v97
	v_mul_f16_e32 v98, 0x2de8, v109
	v_add_f16_e32 v67, v69, v67
	v_add_f16_e64 v69, v84, v131
	v_add_f16_e32 v73, v74, v73
	v_sub_f16_e64 v74, v159, v99
	v_add_f16_e32 v23, v50, v23
	v_add_f16_e32 v50, v55, v125
	v_add_f16_e32 v19, v21, v19
	v_sub_f16_e64 v21, v153, v81
	v_pk_add_f16 v15, v15, v16
	v_mul_f16_e64 v138, 0xb461, v39
	v_add_f16_e32 v122, v127, v122
	v_mul_f16_e32 v127, 0xb461, v43
	v_mul_f16_e64 v154, 0x39e9, v43
	v_mul_f16_e32 v116, 0x3722, v109
	v_add_f16_e32 v67, v69, v67
	v_add_f16_e32 v69, v83, v98
	;; [unrolled: 1-line block ×3, first 2 shown]
	v_sub_f16_e64 v74, v134, v95
	v_add_f16_e32 v23, v50, v23
	v_add_f16_e32 v20, v56, v101
	v_add_f16_e32 v19, v21, v19
	v_sub_f16_e64 v21, v135, v80
	v_pk_add_f16 v13, v15, v13
	v_mul_f16_e32 v126, 0xbbdd, v38
	v_add_f16_e32 v122, v124, v122
	v_mul_f16_e32 v124, 0xb8d2, v45
	v_mul_f16_e32 v118, 0x3b76, v45
	v_sub_f16_e64 v117, v138, v117
	v_mul_f16_e64 v138, 0x3b76, v107
	v_add_f16_e32 v54, v69, v67
	v_add_f16_e32 v67, v74, v73
	v_sub_f16_e64 v69, v154, v77
	v_add_f16_e32 v18, v20, v23
	v_add_f16_e32 v20, v57, v116
	;; [unrolled: 1-line block ×3, first 2 shown]
	v_sub_f16_e32 v16, v127, v79
	v_pk_add_f16 v13, v13, v14
	v_mul_f16_e32 v105, 0xbacd, v47
	v_sub_f16_e32 v119, v126, v119
	v_mul_f16_e32 v126, 0x2de8, v47
	v_add_f16_e32 v52, v69, v67
	v_sub_f16_e32 v24, v118, v75
	v_add_f16_e32 v18, v20, v18
	v_add_f16_e64 v20, v58, v138
	v_add_f16_e32 v15, v16, v19
	v_sub_f16_e32 v16, v124, v78
	v_pk_add_f16 v11, v13, v11
	v_add_f16_e32 v119, v119, v120
	v_mul_f16_e32 v120, 0xbbdd, v49
	v_add_f16_e32 v24, v24, v52
	v_sub_f16_e32 v22, v126, v72
	v_add_f16_e32 v18, v20, v18
	v_bfi_b32 v20, 0xffff, v59, v93
	v_add_f16_e32 v15, v16, v15
	v_sub_f16_e32 v16, v105, v76
	v_pk_add_f16 v11, v11, v12
	v_add_f16_e32 v22, v22, v24
	v_bfi_b32 v19, 0xffff, v60, v87
	v_pk_add_f16 v20, v147, v20
	v_add_f16_e32 v15, v16, v15
	v_sub_f16_e32 v16, v120, v94
	v_pk_mul_f16 v24, 0xbbdd, v36 op_sel_hi:[0,1]
	v_pk_add_f16 v9, v11, v9
	v_add_f16_e64 v123, v130, v123
	v_mul_f16_e64 v130, 0xbacd, v49
	v_bfi_b32 v21, 0xffff, v61, v88
	v_add_f16_e32 v15, v16, v15
	v_pk_add_f16 v16, v19, v20
	v_pk_fma_f16 v19, 0xb1e1, v34, v24 op_sel:[0,0,1] op_sel_hi:[0,1,0] neg_lo:[0,1,0] neg_hi:[0,1,0]
	v_pk_mul_f16 v20, 0x3b76, v38 op_sel_hi:[0,1]
	v_pk_add_f16 v9, v9, v10
	v_pk_fma_f16 v10, 0xb1e1, v34, v24 op_sel:[0,0,1] op_sel_hi:[0,1,0]
	v_mul_f16_e32 v115, 0x3722, v115
	v_sub_f16_e64 v17, v130, v70
	v_bfi_b32 v14, 0xffff, v62, v91
	v_pk_add_f16 v16, v21, v16
	v_pk_add_f16 v19, v147, v19
	v_pk_fma_f16 v21, 0x35c8, v35, v20 op_sel:[0,0,1] op_sel_hi:[0,1,0] neg_lo:[0,1,0] neg_hi:[0,1,0]
	v_pk_mul_f16 v24, 0xbacd, v39 op_sel_hi:[0,1]
	v_pk_add_f16 v10, v147, v10
	v_pk_fma_f16 v20, 0x35c8, v35, v20 op_sel:[0,0,1] op_sel_hi:[0,1,0]
	v_mul_f16_e64 v133, 0x3b76, v41
	v_mul_f16_e32 v111, 0xbacd, v111
	v_add_f16_e32 v102, v102, v115
	v_add_f16_e32 v17, v17, v22
	v_bfi_b32 v22, 0xffff, v63, v89
	v_pk_add_f16 v14, v14, v16
	v_pk_add_f16 v16, v21, v19
	v_pk_fma_f16 v19, 0xb836, v37, v24 op_sel:[0,0,1] op_sel_hi:[0,1,0] neg_lo:[0,1,0] neg_hi:[0,1,0]
	v_pk_mul_f16 v21, 0x39e9, v41 op_sel_hi:[0,1]
	v_pk_add_f16 v10, v20, v10
	v_pk_fma_f16 v20, 0xb836, v37, v24 op_sel:[0,0,1] op_sel_hi:[0,1,0]
	v_mul_f16_e32 v121, 0x3722, v43
	v_mul_f16_e32 v109, 0xb8d2, v109
	v_add_f16_e32 v97, v102, v97
	v_add_f16_e32 v96, v96, v111
	;; [unrolled: 1-line block ×3, first 2 shown]
	v_sub_f16_e64 v114, v133, v114
	v_bfi_b32 v13, 0xffff, v64, v90
	v_pk_add_f16 v14, v22, v14
	v_pk_add_f16 v16, v19, v16
	v_pk_fma_f16 v19, 0x3964, v40, v21 op_sel:[0,0,1] op_sel_hi:[0,1,0] neg_lo:[0,1,0] neg_hi:[0,1,0]
	v_pk_mul_f16 v22, 0xb8d2, v43 op_sel_hi:[0,1]
	v_pk_add_f16 v10, v20, v10
	v_pk_fma_f16 v20, 0x3964, v40, v21 op_sel:[0,0,1] op_sel_hi:[0,1,0]
	v_mul_f16_e64 v148, 0xbacd, v45
	v_mul_f16_e64 v152, 0xbacd, v107
	v_mul_f16_e32 v107, 0x39e9, v107
	v_add_f16_e32 v96, v96, v97
	v_add_f16_e32 v97, v104, v109
	;; [unrolled: 1-line block ×3, first 2 shown]
	v_sub_f16_e32 v109, v121, v113
	v_fmac_f16_e64 v167, 0xb1e1, v44
	v_bfi_b32 v23, 0xffff, v66, v92
	v_pk_add_f16 v13, v13, v14
	v_pk_add_f16 v14, v19, v16
	v_pk_fma_f16 v16, 0xba62, v42, v22 op_sel:[0,0,1] op_sel_hi:[0,1,0] neg_lo:[0,1,0] neg_hi:[0,1,0]
	v_pk_mul_f16 v19, 0x3722, v45 op_sel_hi:[0,1]
	v_pk_add_f16 v10, v20, v10
	v_pk_fma_f16 v20, 0xba62, v42, v22 op_sel:[0,0,1] op_sel_hi:[0,1,0]
	v_mul_f16_e32 v115, 0xb8d2, v47
	v_add_f16_e32 v71, v97, v96
	v_add_f16_e32 v96, v106, v107
	;; [unrolled: 1-line block ×3, first 2 shown]
	v_sub_f16_e64 v104, v148, v112
	v_add_f16_e64 v146, v167, v160
	v_fmac_f16_e64 v174, 0x3964, v46
	v_bfi_b32 v12, 0xffff, v65, v85
	v_pk_add_f16 v13, v23, v13
	v_pk_add_f16 v14, v16, v14
	v_pk_fma_f16 v16, 0x3b29, v44, v19 op_sel:[0,0,1] op_sel_hi:[0,1,0] neg_lo:[0,1,0] neg_hi:[0,1,0]
	v_pk_mul_f16 v21, 0xb461, v47 op_sel_hi:[0,1]
	v_pk_add_f16 v10, v20, v10
	v_pk_fma_f16 v19, 0x3b29, v44, v19 op_sel:[0,0,1] op_sel_hi:[0,1,0]
	v_mul_f16_e32 v102, 0x39e9, v49
	v_add_f16_e32 v71, v96, v71
	v_add_f16_e32 v96, v104, v97
	v_sub_f16_e32 v97, v115, v110
	v_fmac_f16_e64 v161, 0xb1e1, v46
	v_add_f16_e64 v146, v174, v146
	v_fmac_f16_e64 v176, 0xbbb2, v48
	v_pk_add_f16 v12, v12, v13
	v_pk_add_f16 v13, v16, v14
	v_pk_fma_f16 v14, 0xbbb2, v46, v21 op_sel:[0,0,1] op_sel_hi:[0,1,0] neg_lo:[0,1,0] neg_hi:[0,1,0]
	v_pk_mul_f16 v16, 0x2de8, v49 op_sel_hi:[0,1]
	v_pk_add_f16 v10, v19, v10
	v_pk_fma_f16 v19, 0xbbb2, v46, v21 op_sel:[0,0,1] op_sel_hi:[0,1,0]
	v_add_f16_e32 v96, v97, v96
	v_sub_f16_e32 v97, v102, v108
	v_add_f16_e64 v51, v68, v152
	v_add_f16_e64 v145, v161, v145
	v_fmac_f16_e64 v169, 0x3b29, v48
	v_add_f16_e64 v146, v176, v146
	v_pk_add_f16 v13, v14, v13
	v_pk_fma_f16 v14, 0x3bf7, v48, v16 op_sel:[0,0,1] op_sel_hi:[0,1,0] neg_lo:[0,1,0] neg_hi:[0,1,0]
	v_pk_add_f16 v10, v19, v10
	v_pk_fma_f16 v16, 0x3bf7, v48, v16 op_sel:[0,0,1] op_sel_hi:[0,1,0]
	v_add_f16_e32 v84, v97, v96
	v_add_f16_e32 v51, v51, v54
	v_add_f16_e64 v145, v169, v145
	v_lshl_add_u32 v11, v0, 6, v25
	v_pk_add_f16 v9, v9, v33
	v_pack_b32_f16 v19, v141, v146
	v_pk_add_f16 v13, v14, v13
	v_pk_add_f16 v10, v16, v10
	v_alignbit_b32 v18, v18, v12, 16
	v_pack_b32_f16 v12, v15, v12
	v_pack_b32_f16 v15, v84, v71
	;; [unrolled: 1-line block ×5, first 2 shown]
	ds_store_2addr_b32 v11, v9, v19 offset1:7
	v_alignbit_b32 v9, v13, v10, 16
	v_alignbit_b32 v10, v10, v13, 16
	v_pack_b32_f16 v13, v143, v139
	v_pack_b32_f16 v19, v140, v144
	v_perm_b32 v20, v26, v7, 0x5040100
	v_perm_b32 v21, v29, v6, 0x5040100
	;; [unrolled: 1-line block ×5, first 2 shown]
	ds_store_2addr_b32 v11, v12, v18 offset0:1 offset1:2
	ds_store_2addr_b32 v11, v14, v15 offset0:3 offset1:4
	;; [unrolled: 1-line block ×7, first 2 shown]
	ds_store_b32 v11, v24 offset:64
.LBB0_19:
	s_wait_alu 0xfffe
	s_or_b32 exec_lo, exec_lo, s1
	v_and_b32_e32 v9, 0xff, v0
	v_add_nc_u32_e32 v24, 0xaa, v0
	v_add_nc_u32_e32 v23, 0x154, v0
	global_wb scope:SCOPE_SE
	s_wait_dscnt 0x0
	s_barrier_signal -1
	v_mul_lo_u16 v10, 0xf1, v9
	s_barrier_wait -1
	v_and_b32_e32 v11, 0xffff, v23
	global_inv scope:SCOPE_SE
	v_add_nc_u32_e32 v49, 0x1fe, v0
	v_lshrrev_b16 v41, 12, v10
	v_and_b32_e32 v10, 0xffff, v24
	v_mul_u32_u24_e32 v43, 0xf0f1, v11
	v_add_nc_u32_e32 v50, 0x400, v25
	v_mul_lo_u16 v37, 0x79, v9
	v_mul_lo_u16 v12, v41, 17
	v_mul_u32_u24_e32 v42, 0xf0f1, v10
	v_lshrrev_b32_e32 v45, 20, v43
	v_add_nc_u32_e32 v9, 0xf00, v25
	v_and_b32_e32 v52, 0xffff, v49
	v_sub_nc_u16 v10, v0, v12
	v_lshrrev_b32_e32 v44, 20, v42
	v_mul_lo_u16 v11, v45, 17
	v_add_nc_u32_e32 v51, 0x1400, v25
	v_lshrrev_b16 v53, 13, v37
	v_and_b32_e32 v46, 0xff, v10
	v_mul_lo_u16 v10, v44, 17
	v_sub_nc_u16 v11, v23, v11
	v_mul_u32_u24_e32 v52, 0xf0f1, v52
	v_lshrrev_b32_e32 v43, 22, v43
	v_mul_u32_u24_e32 v12, 3, v46
	v_sub_nc_u16 v10, v24, v10
	v_and_b32_e32 v48, 0xffff, v11
	v_lshrrev_b32_e32 v52, 22, v52
	v_mul_lo_u16 v62, 0x44, v43
	v_lshlrev_b32_e32 v12, 2, v12
	v_and_b32_e32 v47, 0xffff, v10
	v_mul_u32_u24_e32 v14, 3, v48
	v_mul_lo_u16 v63, 0x44, v52
	v_sub_nc_u16 v23, v23, v62
	global_load_b96 v[10:12], v12, s[4:5]
	v_mul_u32_u24_e32 v13, 3, v47
	v_lshlrev_b32_e32 v16, 2, v14
	v_mul_u32_u24_e32 v44, 0x110, v44
	v_mul_u32_u24_e32 v45, 0x110, v45
	v_sub_nc_u16 v49, v49, v63
	v_lshlrev_b32_e32 v13, 2, v13
	v_and_b32_e32 v63, 0xffff, v23
	v_lshlrev_b32_e32 v23, 2, v47
	v_lshlrev_b32_e32 v47, 2, v48
	s_clause 0x1
	global_load_b96 v[13:15], v13, s[4:5]
	global_load_b96 v[16:18], v16, s[4:5]
	ds_load_2addr_b32 v[19:20], v31 offset0:36 offset1:206
	ds_load_2addr_b32 v[21:22], v32 offset0:40 offset1:210
	ds_load_2addr_b32 v[33:34], v25 offset1:170
	ds_load_2addr_b32 v[35:36], v50 offset0:84 offset1:254
	ds_load_2addr_b32 v[37:38], v9 offset0:60 offset1:230
	;; [unrolled: 1-line block ×3, first 2 shown]
	v_add3_u32 v23, 0, v44, v23
	v_add3_u32 v44, 0, v45, v47
	v_lshrrev_b32_e32 v42, 22, v42
	v_mul_lo_u16 v54, 0x44, v53
	v_and_b32_e32 v41, 0xffff, v41
	v_lshlrev_b32_e32 v46, 2, v46
	v_and_b32_e32 v49, 0xffff, v49
	v_mul_lo_u16 v61, 0x44, v42
	v_sub_nc_u16 v54, v0, v54
	v_mul_u32_u24_e32 v41, 0x110, v41
	global_wb scope:SCOPE_SE
	s_wait_loadcnt_dscnt 0x0
	s_barrier_signal -1
	v_sub_nc_u16 v61, v24, v61
	v_and_b32_e32 v54, 0xff, v54
	v_add3_u32 v41, 0, v41, v46
	v_lshrrev_b32_e32 v55, 16, v19
	v_lshrrev_b32_e32 v56, 16, v22
	;; [unrolled: 1-line block ×12, first 2 shown]
	v_and_b32_e32 v61, 0xffff, v61
	v_lshlrev_b32_e32 v62, 3, v54
	s_barrier_wait -1
	global_inv scope:SCOPE_SE
	v_lshlrev_b32_e32 v48, 3, v63
	v_lshlrev_b32_e32 v46, 3, v61
	v_mul_u32_u24_e32 v43, 0x330, v43
	v_mul_u32_u24_e32 v42, 0x330, v42
	v_cmp_gt_u32_e64 s0, 34, v0
	v_lshrrev_b32_e32 v45, 16, v10
	v_lshrrev_b32_e32 v47, 16, v11
	;; [unrolled: 1-line block ×3, first 2 shown]
	s_delay_alu instid0(VALU_DEP_3) | instskip(SKIP_1) | instid1(VALU_DEP_4)
	v_mul_f16_e32 v71, v45, v65
	v_mul_f16_e32 v45, v45, v36
	;; [unrolled: 1-line block ×6, first 2 shown]
	v_lshrrev_b32_e32 v74, 16, v13
	v_lshrrev_b32_e32 v75, 16, v14
	;; [unrolled: 1-line block ×6, first 2 shown]
	v_fma_f16 v36, v10, v36, -v71
	v_fmac_f16_e32 v45, v10, v65
	v_fma_f16 v10, v11, v37, -v72
	v_fmac_f16_e32 v47, v11, v66
	;; [unrolled: 2-line block ×3, first 2 shown]
	v_mul_f16_e32 v12, v74, v58
	v_mul_f16_e32 v37, v74, v21
	;; [unrolled: 1-line block ×12, first 2 shown]
	v_fma_f16 v12, v13, v21, -v12
	v_fmac_f16_e32 v37, v13, v58
	v_fma_f16 v13, v14, v38, -v40
	v_fmac_f16_e32 v65, v14, v68
	;; [unrolled: 2-line block ×5, first 2 shown]
	v_fma_f16 v17, v20, v18, -v75
	v_sub_f16_e32 v10, v33, v10
	v_sub_f16_e32 v19, v59, v47
	;; [unrolled: 1-line block ×4, first 2 shown]
	v_fmac_f16_e32 v76, v57, v18
	v_fma_f16 v18, v33, 2.0, -v10
	v_fma_f16 v21, v59, 2.0, -v19
	v_fma_f16 v22, v36, 2.0, -v11
	v_fma_f16 v33, v45, 2.0, -v20
	v_sub_f16_e32 v13, v34, v13
	v_sub_f16_e32 v36, v60, v65
	;; [unrolled: 1-line block ×9, first 2 shown]
	v_add_f16_e32 v11, v19, v11
	v_sub_f16_e32 v33, v21, v33
	v_fma_f16 v34, v34, 2.0, -v13
	v_fma_f16 v45, v60, 2.0, -v36
	;; [unrolled: 1-line block ×8, first 2 shown]
	v_sub_f16_e32 v22, v18, v22
	v_fma_f16 v10, v10, 2.0, -v20
	v_fma_f16 v19, v19, 2.0, -v11
	v_sub_f16_e32 v38, v13, v38
	v_add_f16_e32 v14, v36, v14
	v_sub_f16_e32 v40, v16, v40
	v_add_f16_e32 v17, v39, v17
	v_pack_b32_f16 v11, v20, v11
	v_fma_f16 v20, v21, 2.0, -v33
	v_sub_f16_e32 v12, v34, v12
	v_sub_f16_e32 v21, v45, v37
	;; [unrolled: 1-line block ×4, first 2 shown]
	v_fma_f16 v18, v18, 2.0, -v22
	v_fma_f16 v13, v13, 2.0, -v38
	;; [unrolled: 1-line block ×5, first 2 shown]
	v_pack_b32_f16 v10, v10, v19
	v_pack_b32_f16 v19, v22, v33
	v_fma_f16 v22, v34, 2.0, -v12
	v_fma_f16 v33, v45, 2.0, -v21
	v_fma_f16 v34, v35, 2.0, -v15
	v_fma_f16 v35, v47, 2.0, -v37
	v_pack_b32_f16 v18, v18, v20
	v_pack_b32_f16 v14, v38, v14
	;; [unrolled: 1-line block ×3, first 2 shown]
	ds_store_2addr_b32 v41, v19, v11 offset0:34 offset1:51
	v_pack_b32_f16 v11, v13, v36
	v_pack_b32_f16 v13, v16, v39
	;; [unrolled: 1-line block ×6, first 2 shown]
	ds_store_2addr_b32 v41, v18, v10 offset1:17
	ds_store_2addr_b32 v23, v12, v14 offset0:34 offset1:51
	ds_store_2addr_b32 v23, v16, v11 offset1:17
	ds_store_2addr_b32 v44, v19, v13 offset1:17
	ds_store_2addr_b32 v44, v15, v17 offset0:34 offset1:51
	global_wb scope:SCOPE_SE
	s_wait_dscnt 0x0
	s_barrier_signal -1
	s_barrier_wait -1
	global_inv scope:SCOPE_SE
	global_load_b64 v[12:13], v62, s[4:5] offset:204
	v_lshlrev_b32_e32 v10, 3, v49
	s_clause 0x2
	global_load_b64 v[14:15], v46, s[4:5] offset:204
	global_load_b64 v[16:17], v48, s[4:5] offset:204
	;; [unrolled: 1-line block ×3, first 2 shown]
	v_and_b32_e32 v10, 0xffff, v53
	ds_load_2addr_b32 v[20:21], v25 offset1:170
	v_mul_u32_u24_e32 v45, 0x330, v52
	v_lshlrev_b32_e32 v46, 2, v61
	v_lshlrev_b32_e32 v47, 2, v49
	v_mul_u32_u24_e32 v44, 0x330, v10
	ds_load_2addr_b32 v[10:11], v50 offset0:84 offset1:254
	ds_load_2addr_b32 v[22:23], v31 offset0:36 offset1:206
	;; [unrolled: 1-line block ×5, first 2 shown]
	v_lshlrev_b32_e32 v32, 2, v63
	v_lshlrev_b32_e32 v31, 2, v54
	v_add3_u32 v42, 0, v42, v46
	v_add3_u32 v45, 0, v45, v47
	v_add_nc_u32_e32 v35, 0xc00, v25
	v_add3_u32 v43, 0, v43, v32
	v_add3_u32 v44, 0, v44, v31
	v_add_nc_u32_e32 v36, 0x1300, v25
	v_add_nc_u32_e32 v37, 0x1900, v25
	global_wb scope:SCOPE_SE
	s_wait_loadcnt_dscnt 0x0
	s_barrier_signal -1
	s_barrier_wait -1
	v_lshrrev_b32_e32 v46, 16, v20
	v_lshrrev_b32_e32 v47, 16, v21
	global_inv scope:SCOPE_SE
	v_lshrrev_b32_e32 v48, 16, v10
	v_lshrrev_b32_e32 v32, 16, v22
	v_lshrrev_b32_e32 v51, 16, v38
	v_lshrrev_b32_e32 v52, 16, v40
	v_lshrrev_b32_e32 v53, 16, v39
	v_lshrrev_b32_e32 v54, 16, v41
	v_lshrrev_b32_e32 v49, 16, v34
	v_lshrrev_b32_e32 v50, 16, v23
	v_lshrrev_b32_e32 v55, 16, v33
	v_lshrrev_b32_e32 v31, 16, v11
	v_lshrrev_b32_e32 v56, 16, v12
	v_lshrrev_b32_e32 v57, 16, v13
	v_lshrrev_b32_e32 v58, 16, v14
	v_lshrrev_b32_e32 v59, 16, v15
	v_lshrrev_b32_e32 v60, 16, v16
	v_lshrrev_b32_e32 v61, 16, v17
	v_lshrrev_b32_e32 v62, 16, v18
	v_lshrrev_b32_e32 v63, 16, v19
	v_mul_f16_e32 v64, v56, v51
	v_mul_f16_e32 v56, v56, v38
	;; [unrolled: 1-line block ×16, first 2 shown]
	v_fma_f16 v38, v12, v38, -v64
	v_fmac_f16_e32 v56, v12, v51
	v_fma_f16 v12, v13, v40, -v65
	v_fmac_f16_e32 v57, v13, v52
	;; [unrolled: 2-line block ×8, first 2 shown]
	v_add_f16_e32 v19, v20, v38
	v_add_f16_e32 v22, v38, v12
	;; [unrolled: 1-line block ×5, first 2 shown]
	v_sub_f16_e32 v23, v56, v57
	v_add_f16_e32 v32, v46, v56
	v_sub_f16_e32 v40, v58, v59
	v_add_f16_e32 v41, v47, v58
	v_add_f16_e32 v51, v15, v16
	v_sub_f16_e32 v52, v60, v61
	v_add_f16_e32 v53, v48, v60
	v_add_f16_e32 v54, v60, v61
	;; [unrolled: 1-line block ×3, first 2 shown]
	v_sub_f16_e32 v58, v62, v63
	v_add_f16_e32 v60, v31, v62
	v_add_f16_e32 v62, v62, v63
	v_sub_f16_e32 v34, v38, v12
	v_add_f16_e32 v12, v19, v12
	v_fma_f16 v19, -0.5, v22, v20
	v_fmac_f16_e32 v46, -0.5, v33
	v_add_f16_e32 v38, v21, v13
	v_add_f16_e32 v50, v10, v15
	;; [unrolled: 1-line block ×3, first 2 shown]
	v_sub_f16_e32 v13, v13, v14
	v_fmac_f16_e32 v21, -0.5, v39
	v_fmac_f16_e32 v47, -0.5, v49
	v_sub_f16_e32 v15, v15, v16
	v_sub_f16_e32 v17, v17, v18
	v_fma_f16 v33, -0.5, v51, v10
	v_fmac_f16_e32 v48, -0.5, v54
	v_fmac_f16_e32 v11, -0.5, v56
	v_fmac_f16_e32 v31, -0.5, v62
	v_add_f16_e32 v20, v32, v57
	v_add_f16_e32 v22, v41, v59
	v_fmamk_f16 v41, v23, 0x3aee, v19
	v_fmac_f16_e32 v19, 0xbaee, v23
	v_fmamk_f16 v23, v34, 0xbaee, v46
	v_add_f16_e32 v14, v38, v14
	v_add_f16_e32 v16, v50, v16
	;; [unrolled: 1-line block ×5, first 2 shown]
	v_fmac_f16_e32 v46, 0x3aee, v34
	v_fmamk_f16 v34, v40, 0x3aee, v21
	v_fmac_f16_e32 v21, 0xbaee, v40
	v_fmamk_f16 v40, v13, 0xbaee, v47
	;; [unrolled: 2-line block ×6, first 2 shown]
	v_fmac_f16_e32 v31, 0x3aee, v17
	v_pack_b32_f16 v12, v12, v20
	v_pack_b32_f16 v17, v41, v23
	;; [unrolled: 1-line block ×12, first 2 shown]
	ds_store_2addr_b32 v44, v12, v17 offset1:68
	ds_store_b32 v44, v18 offset:544
	ds_store_2addr_b32 v42, v14, v19 offset1:68
	ds_store_b32 v42, v20 offset:544
	;; [unrolled: 2-line block ×4, first 2 shown]
	global_wb scope:SCOPE_SE
	s_wait_dscnt 0x0
	s_barrier_signal -1
	s_barrier_wait -1
	global_inv scope:SCOPE_SE
	ds_load_2addr_b32 v[14:15], v25 offset1:204
	ds_load_2addr_b32 v[22:23], v30 offset0:24 offset1:228
	ds_load_2addr_b32 v[20:21], v35 offset0:48 offset1:252
	;; [unrolled: 1-line block ×4, first 2 shown]
                                        ; implicit-def: $vgpr33
                                        ; implicit-def: $vgpr13
                                        ; implicit-def: $vgpr34
                                        ; implicit-def: $vgpr30
	s_and_saveexec_b32 s1, s0
	s_cbranch_execz .LBB0_21
; %bb.20:
	v_add_nc_u32_e32 v1, 0x200, v25
	v_add_nc_u32_e32 v6, 0x900, v25
	;; [unrolled: 1-line block ×3, first 2 shown]
	ds_load_2addr_b32 v[4:5], v9 offset0:26 offset1:230
	ds_load_2addr_b32 v[10:11], v1 offset0:42 offset1:246
	v_add_nc_u32_e32 v1, 0x1c00, v25
	ds_load_2addr_b32 v[6:7], v6 offset0:2 offset1:206
	ds_load_2addr_b32 v[8:9], v8 offset0:50 offset1:254
	;; [unrolled: 1-line block ×3, first 2 shown]
	s_wait_dscnt 0x4
	v_lshrrev_b32_e32 v27, 16, v4
	v_lshrrev_b32_e32 v1, 16, v5
	s_wait_dscnt 0x3
	v_lshrrev_b32_e32 v32, 16, v10
	v_lshrrev_b32_e32 v31, 16, v11
	;; [unrolled: 3-line block ×5, first 2 shown]
.LBB0_21:
	s_wait_alu 0xfffe
	s_or_b32 exec_lo, exec_lo, s1
	v_mul_u32_u24_e32 v38, 9, v0
	s_wait_dscnt 0x0
	v_lshrrev_b32_e32 v49, 16, v16
	v_lshrrev_b32_e32 v50, 16, v19
	;; [unrolled: 1-line block ×4, first 2 shown]
	v_lshlrev_b32_e32 v46, 2, v38
	v_lshrrev_b32_e32 v53, 16, v20
	v_lshrrev_b32_e32 v54, 16, v23
	;; [unrolled: 1-line block ×4, first 2 shown]
	s_clause 0x2
	global_load_b128 v[38:41], v46, s[4:5] offset:748
	global_load_b128 v[42:45], v46, s[4:5] offset:764
	global_load_b32 v46, v46, s[4:5] offset:780
	v_lshrrev_b32_e32 v48, 16, v17
	v_lshrrev_b32_e32 v47, 16, v14
	v_add_nc_u32_e32 v57, 0x600, v25
	global_wb scope:SCOPE_SE
	s_wait_loadcnt 0x0
	s_barrier_signal -1
	s_barrier_wait -1
	global_inv scope:SCOPE_SE
	v_lshrrev_b32_e32 v58, 16, v38
	v_lshrrev_b32_e32 v59, 16, v39
	;; [unrolled: 1-line block ×9, first 2 shown]
	v_mul_f16_e32 v67, v58, v56
	v_mul_f16_e32 v68, v59, v55
	;; [unrolled: 1-line block ×18, first 2 shown]
	v_fma_f16 v15, v38, v15, -v67
	v_fma_f16 v22, v39, v22, -v68
	v_fmac_f16_e32 v59, v39, v55
	v_fma_f16 v23, v40, v23, -v69
	v_fma_f16 v20, v41, v20, -v70
	v_fmac_f16_e32 v61, v41, v53
	v_fma_f16 v21, v42, v21, -v71
	v_fmac_f16_e32 v62, v42, v52
	;; [unrolled: 2-line block ×5, first 2 shown]
	v_fmac_f16_e32 v60, v40, v54
	v_fma_f16 v17, v17, v46, -v75
	v_fmac_f16_e32 v66, v48, v46
	v_fmac_f16_e32 v58, v38, v56
	v_add_f16_e32 v38, v14, v22
	v_add_f16_e32 v39, v20, v18
	v_sub_f16_e32 v40, v59, v65
	v_sub_f16_e32 v42, v22, v20
	;; [unrolled: 1-line block ×3, first 2 shown]
	v_add_f16_e32 v44, v22, v16
	v_add_f16_e32 v48, v47, v59
	;; [unrolled: 1-line block ×3, first 2 shown]
	v_sub_f16_e32 v51, v59, v61
	v_add_f16_e32 v53, v59, v65
	v_sub_f16_e32 v54, v61, v59
	v_add_f16_e32 v56, v15, v23
	v_add_f16_e32 v59, v21, v19
	;; [unrolled: 1-line block ×5, first 2 shown]
	v_sub_f16_e32 v45, v20, v22
	v_sub_f16_e32 v46, v18, v16
	;; [unrolled: 1-line block ×7, first 2 shown]
	v_add_f16_e32 v74, v58, v60
	v_sub_f16_e32 v23, v23, v17
	v_sub_f16_e32 v76, v21, v19
	v_add_f16_e32 v20, v38, v20
	v_fma_f16 v38, -0.5, v39, v14
	v_add_f16_e32 v39, v42, v43
	v_fmac_f16_e32 v14, -0.5, v44
	v_add_f16_e32 v43, v48, v61
	v_fma_f16 v44, -0.5, v49, v47
	v_fmac_f16_e32 v47, -0.5, v53
	v_add_f16_e32 v21, v56, v21
	v_fma_f16 v48, -0.5, v59, v15
	v_fma_f16 v53, -0.5, v75, v58
	v_sub_f16_e32 v68, v62, v64
	v_fmac_f16_e32 v15, -0.5, v71
	v_fmac_f16_e32 v58, -0.5, v79
	v_sub_f16_e32 v55, v63, v65
	v_sub_f16_e32 v70, v17, v19
	;; [unrolled: 1-line block ×6, first 2 shown]
	v_add_f16_e32 v42, v45, v46
	v_add_f16_e32 v45, v51, v52
	;; [unrolled: 1-line block ×4, first 2 shown]
	v_fmamk_f16 v21, v67, 0x3b9c, v48
	v_fmamk_f16 v62, v23, 0xbb9c, v53
	v_sub_f16_e32 v41, v61, v63
	v_sub_f16_e32 v80, v64, v66
	v_add_f16_e32 v43, v43, v63
	v_fmamk_f16 v61, v68, 0xbb9c, v15
	v_fmac_f16_e32 v15, 0x3b9c, v68
	v_fmamk_f16 v63, v76, 0x3b9c, v58
	v_fmac_f16_e32 v58, 0xbb9c, v76
	v_sub_f16_e32 v22, v22, v16
	v_fmac_f16_e32 v48, 0xbb9c, v67
	v_fmac_f16_e32 v53, 0x3b9c, v23
	v_add_f16_e32 v46, v54, v55
	v_add_f16_e32 v49, v69, v70
	;; [unrolled: 1-line block ×5, first 2 shown]
	v_fmac_f16_e32 v21, 0x38b4, v68
	v_fmac_f16_e32 v62, 0xb8b4, v76
	v_add_f16_e32 v51, v72, v73
	v_add_f16_e32 v55, v60, v80
	v_fmamk_f16 v20, v40, 0x3b9c, v38
	v_fmac_f16_e32 v38, 0xbb9c, v40
	v_fmamk_f16 v56, v41, 0xbb9c, v14
	v_fmac_f16_e32 v14, 0x3b9c, v41
	v_fmac_f16_e32 v61, 0x38b4, v67
	;; [unrolled: 1-line block ×5, first 2 shown]
	v_fmamk_f16 v59, v22, 0xbb9c, v44
	v_fmac_f16_e32 v44, 0x3b9c, v22
	v_fmac_f16_e32 v48, 0xb8b4, v68
	;; [unrolled: 1-line block ×3, first 2 shown]
	v_fmamk_f16 v60, v50, 0x3b9c, v47
	v_fmac_f16_e32 v47, 0xbb9c, v50
	v_add_f16_e32 v16, v18, v16
	v_add_f16_e32 v18, v43, v65
	;; [unrolled: 1-line block ×4, first 2 shown]
	v_fmac_f16_e32 v21, 0x34f2, v49
	v_fmac_f16_e32 v62, 0x34f2, v54
	;; [unrolled: 1-line block ×16, first 2 shown]
	v_add_f16_e32 v22, v16, v17
	v_add_f16_e32 v23, v18, v19
	v_sub_f16_e32 v16, v16, v17
	v_sub_f16_e32 v17, v18, v19
	v_mul_f16_e32 v18, 0x38b4, v62
	v_mul_f16_e32 v41, 0xb8b4, v21
	v_fmac_f16_e32 v20, 0x34f2, v39
	v_fmac_f16_e32 v38, 0x34f2, v39
	v_fmac_f16_e32 v56, 0x34f2, v42
	v_fmac_f16_e32 v14, 0x34f2, v42
	v_mul_f16_e32 v19, 0x3b9c, v63
	v_mul_f16_e32 v39, 0x34f2, v15
	;; [unrolled: 1-line block ×4, first 2 shown]
	v_fmac_f16_e32 v59, 0x34f2, v45
	v_fmac_f16_e32 v44, 0x34f2, v45
	v_mul_f16_e32 v40, 0x3a79, v48
	v_mul_f16_e32 v45, 0x3a79, v53
	v_fmac_f16_e32 v18, 0x3a79, v21
	v_fmac_f16_e32 v41, 0x3a79, v62
	;; [unrolled: 1-line block ×4, first 2 shown]
	v_pack_b32_f16 v16, v16, v17
	v_fmac_f16_e32 v19, 0x34f2, v61
	v_fma_f16 v17, v58, 0x3b9c, -v39
	v_fmac_f16_e32 v42, 0x34f2, v63
	v_fma_f16 v15, v15, 0xbb9c, -v43
	v_pack_b32_f16 v22, v22, v23
	v_fma_f16 v21, v53, 0x38b4, -v40
	v_fma_f16 v23, v48, 0xb8b4, -v45
	v_add_f16_e32 v39, v20, v18
	v_add_f16_e32 v46, v59, v41
	;; [unrolled: 1-line block ×8, first 2 shown]
	v_sub_f16_e32 v18, v20, v18
	v_sub_f16_e32 v19, v56, v19
	;; [unrolled: 1-line block ×8, first 2 shown]
	v_pack_b32_f16 v38, v39, v46
	v_pack_b32_f16 v39, v40, v48
	;; [unrolled: 1-line block ×8, first 2 shown]
	ds_store_2addr_b32 v25, v22, v38 offset1:204
	ds_store_2addr_b32 v57, v39, v40 offset0:24 offset1:228
	ds_store_2addr_b32 v35, v41, v16 offset0:48 offset1:252
	ds_store_2addr_b32 v36, v18, v19 offset0:8 offset1:212
	ds_store_2addr_b32 v37, v14, v15 offset0:32 offset1:236
	s_and_saveexec_b32 s1, s0
	s_cbranch_execz .LBB0_23
; %bb.22:
	v_subrev_nc_u32_e32 v14, 34, v0
	v_mov_b32_e32 v15, 0
	v_add_nc_u32_e32 v35, 0xf00, v25
	v_add_nc_u32_e32 v36, 0x1500, v25
	s_delay_alu instid0(VALU_DEP_4) | instskip(SKIP_1) | instid1(VALU_DEP_2)
	v_cndmask_b32_e64 v14, v14, v24, s0
	v_add_nc_u32_e32 v24, 0x900, v25
	v_mul_i32_i24_e32 v14, 9, v14
	s_delay_alu instid0(VALU_DEP_1) | instskip(NEXT) | instid1(VALU_DEP_1)
	v_lshlrev_b64_e32 v[14:15], 2, v[14:15]
	v_add_co_u32 v22, s0, s4, v14
	s_wait_alu 0xf1ff
	s_delay_alu instid0(VALU_DEP_2)
	v_add_co_ci_u32_e64 v23, s0, s5, v15, s0
	s_clause 0x2
	global_load_b128 v[14:17], v[22:23], off offset:748
	global_load_b128 v[18:21], v[22:23], off offset:764
	global_load_b32 v22, v[22:23], off offset:780
	v_add_nc_u32_e32 v23, 0x200, v25
	v_add_nc_u32_e32 v25, 0x1c00, v25
	s_wait_loadcnt 0x2
	v_lshrrev_b32_e32 v38, 16, v15
	v_lshrrev_b32_e32 v39, 16, v16
	;; [unrolled: 1-line block ×3, first 2 shown]
	s_wait_loadcnt 0x1
	v_lshrrev_b32_e32 v41, 16, v18
	v_lshrrev_b32_e32 v42, 16, v19
	;; [unrolled: 1-line block ×4, first 2 shown]
	s_wait_loadcnt 0x0
	v_lshrrev_b32_e32 v45, 16, v22
	v_lshrrev_b32_e32 v37, 16, v14
	v_mul_f16_e32 v46, v6, v38
	v_mul_f16_e32 v47, v4, v40
	;; [unrolled: 1-line block ×18, first 2 shown]
	v_fmac_f16_e32 v46, v29, v15
	v_fmac_f16_e32 v47, v27, v17
	v_fmac_f16_e32 v48, v34, v21
	v_fmac_f16_e32 v49, v28, v19
	v_fma_f16 v7, v7, v16, -v50
	v_fma_f16 v5, v5, v18, -v51
	;; [unrolled: 1-line block ×4, first 2 shown]
	v_fmac_f16_e32 v39, v26, v16
	v_fmac_f16_e32 v45, v33, v22
	;; [unrolled: 1-line block ×4, first 2 shown]
	v_fma_f16 v4, v4, v17, -v40
	v_fma_f16 v8, v8, v19, -v42
	;; [unrolled: 1-line block ×5, first 2 shown]
	v_fmac_f16_e32 v37, v31, v14
	v_sub_f16_e32 v1, v46, v47
	v_sub_f16_e32 v14, v48, v49
	v_add_f16_e32 v17, v47, v49
	v_sub_f16_e32 v18, v7, v5
	v_sub_f16_e32 v19, v13, v9
	v_add_f16_e32 v20, v5, v9
	;; [unrolled: 3-line block ×3, first 2 shown]
	v_add_f16_e32 v34, v46, v48
	v_add_f16_e32 v42, v7, v13
	;; [unrolled: 1-line block ×3, first 2 shown]
	v_sub_f16_e32 v16, v6, v12
	v_sub_f16_e32 v21, v39, v45
	;; [unrolled: 1-line block ×11, first 2 shown]
	v_add_f16_e32 v52, v32, v46
	v_add_f16_e32 v39, v37, v39
	v_sub_f16_e32 v53, v6, v4
	v_sub_f16_e32 v57, v4, v6
	v_add_f16_e32 v59, v6, v12
	v_add_f16_e32 v6, v10, v6
	;; [unrolled: 1-line block ×4, first 2 shown]
	v_fma_f16 v14, -0.5, v17, v32
	v_add_f16_e32 v17, v18, v19
	v_fma_f16 v18, -0.5, v20, v11
	v_add_f16_e32 v19, v26, v27
	v_fma_f16 v20, -0.5, v30, v37
	v_fma_f16 v27, -0.5, v34, v32
	v_fma_f16 v11, -0.5, v42, v11
	v_fma_f16 v32, -0.5, v51, v37
	v_sub_f16_e32 v15, v4, v8
	v_add_f16_e32 v55, v4, v8
	v_add_f16_e32 v26, v31, v33
	;; [unrolled: 1-line block ×8, first 2 shown]
	v_fmamk_f16 v7, v21, 0xbb9c, v18
	v_fmamk_f16 v40, v29, 0x3b9c, v20
	;; [unrolled: 1-line block ×4, first 2 shown]
	v_fmac_f16_e32 v11, 0xbb9c, v22
	v_fmac_f16_e32 v20, 0xbb9c, v29
	;; [unrolled: 1-line block ×4, first 2 shown]
	v_sub_f16_e32 v46, v46, v48
	v_fma_f16 v38, -0.5, v55, v10
	v_fmamk_f16 v6, v16, 0x3b9c, v14
	v_fmac_f16_e32 v14, 0xbb9c, v16
	v_add_f16_e32 v33, v33, v49
	v_add_f16_e32 v34, v34, v44
	;; [unrolled: 1-line block ×4, first 2 shown]
	v_fmac_f16_e32 v40, 0x38b4, v28
	v_fmac_f16_e32 v43, 0x38b4, v29
	;; [unrolled: 1-line block ×5, first 2 shown]
	v_sub_f16_e32 v56, v47, v49
	v_fma_f16 v10, -0.5, v59, v10
	v_fmac_f16_e32 v42, 0xb8b4, v21
	v_fmac_f16_e32 v32, 0xb8b4, v29
	;; [unrolled: 1-line block ×3, first 2 shown]
	v_sub_f16_e32 v54, v12, v8
	v_sub_f16_e32 v58, v8, v12
	v_fmamk_f16 v41, v15, 0xbb9c, v27
	v_fmac_f16_e32 v27, 0x3b9c, v15
	v_fmamk_f16 v44, v46, 0xbb9c, v38
	v_fmac_f16_e32 v38, 0x3b9c, v46
	v_fmac_f16_e32 v6, 0x38b4, v15
	v_fmac_f16_e32 v14, 0xb8b4, v15
	v_add_f16_e32 v8, v33, v48
	v_add_f16_e32 v9, v34, v45
	v_add_f16_e32 v4, v4, v12
	v_add_f16_e32 v5, v5, v13
	v_fmac_f16_e32 v40, 0x34f2, v19
	v_fmac_f16_e32 v43, 0x34f2, v31
	;; [unrolled: 1-line block ×5, first 2 shown]
	v_fmamk_f16 v47, v56, 0x3b9c, v10
	v_fmac_f16_e32 v10, 0xbb9c, v56
	v_fmac_f16_e32 v42, 0x34f2, v30
	;; [unrolled: 1-line block ×4, first 2 shown]
	v_add_f16_e32 v37, v53, v54
	v_fmac_f16_e32 v41, 0x38b4, v16
	v_fmac_f16_e32 v27, 0xb8b4, v16
	;; [unrolled: 1-line block ×5, first 2 shown]
	v_sub_f16_e32 v1, v8, v9
	v_sub_f16_e32 v12, v4, v5
	v_add_f16_e32 v8, v8, v9
	v_add_f16_e32 v4, v4, v5
	v_mul_f16_e32 v5, 0x3a79, v40
	v_mul_f16_e32 v9, 0x34f2, v43
	;; [unrolled: 1-line block ×5, first 2 shown]
	v_add_f16_e32 v39, v57, v58
	v_fmac_f16_e32 v47, 0xb8b4, v46
	v_fmac_f16_e32 v10, 0x38b4, v46
	v_mul_f16_e32 v17, 0x34f2, v42
	v_mul_f16_e32 v19, 0x3b9c, v32
	v_fmac_f16_e32 v44, 0xb8b4, v56
	v_mul_f16_e32 v16, 0x3a79, v7
	v_fmac_f16_e32 v41, 0x34f2, v26
	v_fmac_f16_e32 v27, 0x34f2, v26
	v_fmac_f16_e32 v38, 0x34f2, v37
	v_fma_f16 v5, v7, 0xb8b4, -v5
	v_fma_f16 v7, v42, 0xbb9c, -v9
	v_fmac_f16_e32 v13, 0x34f2, v32
	v_fmac_f16_e32 v15, 0x3a79, v20
	;; [unrolled: 1-line block ×5, first 2 shown]
	v_fma_f16 v9, v43, 0x3b9c, -v17
	v_fmac_f16_e32 v19, 0x34f2, v11
	v_fmac_f16_e32 v44, 0x34f2, v37
	v_pack_b32_f16 v4, v4, v8
	v_fma_f16 v8, v40, 0x38b4, -v16
	v_pack_b32_f16 v1, v12, v1
	v_sub_f16_e32 v11, v6, v5
	v_sub_f16_e32 v12, v41, v7
	v_sub_f16_e32 v16, v27, v13
	v_sub_f16_e32 v17, v14, v15
	v_add_f16_e32 v5, v6, v5
	v_add_f16_e32 v6, v41, v7
	;; [unrolled: 1-line block ×5, first 2 shown]
	v_sub_f16_e32 v20, v47, v9
	v_sub_f16_e32 v22, v10, v19
	v_add_f16_e32 v10, v10, v19
	v_add_f16_e32 v9, v47, v9
	v_sub_f16_e32 v18, v44, v8
	v_add_f16_e32 v8, v44, v8
	v_sub_f16_e32 v15, v38, v21
	v_pack_b32_f16 v13, v14, v13
	v_pack_b32_f16 v7, v10, v7
	;; [unrolled: 1-line block ×8, first 2 shown]
	ds_store_2addr_b32 v23, v4, v13 offset0:42 offset1:246
	ds_store_2addr_b32 v24, v7, v6 offset0:2 offset1:206
	;; [unrolled: 1-line block ×5, first 2 shown]
.LBB0_23:
	s_wait_alu 0xfffe
	s_or_b32 exec_lo, exec_lo, s1
	global_wb scope:SCOPE_SE
	s_wait_dscnt 0x0
	s_barrier_signal -1
	s_barrier_wait -1
	global_inv scope:SCOPE_SE
	s_and_saveexec_b32 s0, vcc_lo
	s_cbranch_execz .LBB0_25
; %bb.24:
	v_dual_mov_b32 v1, 0 :: v_dual_add_nc_u32 v4, 0xaa, v0
	v_add_co_u32 v36, vcc_lo, s8, v2
	s_wait_alu 0xfffd
	v_add_co_ci_u32_e32 v37, vcc_lo, s9, v3, vcc_lo
	s_delay_alu instid0(VALU_DEP_3) | instskip(SKIP_3) | instid1(VALU_DEP_4)
	v_dual_mov_b32 v5, v1 :: v_dual_add_nc_u32 v8, 0x154, v0
	v_lshlrev_b64_e32 v[2:3], 2, v[0:1]
	v_lshl_add_u32 v34, v0, 2, 0
	v_mov_b32_e32 v9, v1
	v_lshlrev_b64_e32 v[4:5], 2, v[4:5]
	v_dual_mov_b32 v13, v1 :: v_dual_add_nc_u32 v12, 0x1fe, v0
	v_add_co_u32 v2, vcc_lo, v36, v2
	v_add_nc_u32_e32 v10, 0x400, v34
	v_lshlrev_b64_e32 v[8:9], 2, v[8:9]
	v_dual_mov_b32 v15, v1 :: v_dual_add_nc_u32 v14, 0x2a8, v0
	s_wait_alu 0xfffd
	v_add_co_ci_u32_e32 v3, vcc_lo, v37, v3, vcc_lo
	v_add_co_u32 v4, vcc_lo, v36, v4
	v_lshlrev_b64_e32 v[12:13], 2, v[12:13]
	v_dual_mov_b32 v17, v1 :: v_dual_add_nc_u32 v18, 0xa00, v34
	v_dual_mov_b32 v21, v1 :: v_dual_add_nc_u32 v16, 0x352, v0
	s_wait_alu 0xfffd
	v_add_co_ci_u32_e32 v5, vcc_lo, v37, v5, vcc_lo
	v_add_co_u32 v8, vcc_lo, v36, v8
	v_lshlrev_b64_e32 v[14:15], 2, v[14:15]
	v_dual_mov_b32 v25, v1 :: v_dual_add_nc_u32 v20, 0x3fc, v0
	s_wait_alu 0xfffd
	v_add_co_ci_u32_e32 v9, vcc_lo, v37, v9, vcc_lo
	v_add_co_u32 v12, vcc_lo, v36, v12
	v_lshlrev_b64_e32 v[16:17], 2, v[16:17]
	;; [unrolled: 5-line block ×3, first 2 shown]
	v_dual_mov_b32 v27, v1 :: v_dual_add_nc_u32 v22, 0xf00, v34
	v_dual_mov_b32 v33, v1 :: v_dual_add_nc_u32 v26, 0x550, v0
	s_wait_alu 0xfffd
	v_add_co_ci_u32_e32 v15, vcc_lo, v37, v15, vcc_lo
	ds_load_2addr_b32 v[6:7], v34 offset1:170
	v_add_co_u32 v16, vcc_lo, v36, v16
	v_lshlrev_b64_e32 v[24:25], 2, v[24:25]
	v_add_nc_u32_e32 v28, 0x5fa, v0
	ds_load_2addr_b32 v[10:11], v10 offset0:84 offset1:254
	s_wait_alu 0xfffd
	v_add_co_ci_u32_e32 v17, vcc_lo, v37, v17, vcc_lo
	v_add_co_u32 v20, vcc_lo, v36, v20
	v_add_nc_u32_e32 v30, 0x1400, v34
	v_lshlrev_b64_e32 v[26:27], 2, v[26:27]
	ds_load_2addr_b32 v[18:19], v18 offset0:40 offset1:210
	v_add_nc_u32_e32 v32, 0x6a4, v0
	s_wait_alu 0xfffd
	v_add_co_ci_u32_e32 v21, vcc_lo, v37, v21, vcc_lo
	v_add_nc_u32_e32 v34, 0x1a00, v34
	ds_load_2addr_b32 v[22:23], v22 offset0:60 offset1:230
	v_add_co_u32 v24, vcc_lo, v36, v24
	v_lshlrev_b64_e32 v[28:29], 2, v[28:29]
	v_add_nc_u32_e32 v0, 0x74e, v0
	s_wait_alu 0xfffd
	v_add_co_ci_u32_e32 v25, vcc_lo, v37, v25, vcc_lo
	ds_load_2addr_b32 v[30:31], v30 offset0:80 offset1:250
	v_add_co_u32 v26, vcc_lo, v36, v26
	v_lshlrev_b64_e32 v[32:33], 2, v[32:33]
	ds_load_2addr_b32 v[34:35], v34 offset0:36 offset1:206
	s_wait_alu 0xfffd
	v_add_co_ci_u32_e32 v27, vcc_lo, v37, v27, vcc_lo
	v_add_co_u32 v28, vcc_lo, v36, v28
	v_lshlrev_b64_e32 v[0:1], 2, v[0:1]
	s_wait_alu 0xfffd
	v_add_co_ci_u32_e32 v29, vcc_lo, v37, v29, vcc_lo
	v_add_co_u32 v32, vcc_lo, v36, v32
	s_wait_alu 0xfffd
	v_add_co_ci_u32_e32 v33, vcc_lo, v37, v33, vcc_lo
	v_add_co_u32 v0, vcc_lo, v36, v0
	s_wait_alu 0xfffd
	v_add_co_ci_u32_e32 v1, vcc_lo, v37, v1, vcc_lo
	s_wait_dscnt 0x5
	s_clause 0x1
	global_store_b32 v[2:3], v6, off
	global_store_b32 v[4:5], v7, off
	s_wait_dscnt 0x4
	s_clause 0x1
	global_store_b32 v[8:9], v10, off
	global_store_b32 v[12:13], v11, off
	s_wait_dscnt 0x3
	s_clause 0x1
	global_store_b32 v[14:15], v18, off
	global_store_b32 v[16:17], v19, off
	s_wait_dscnt 0x2
	s_clause 0x1
	global_store_b32 v[20:21], v22, off
	global_store_b32 v[24:25], v23, off
	s_wait_dscnt 0x1
	s_clause 0x1
	global_store_b32 v[26:27], v30, off
	global_store_b32 v[28:29], v31, off
	s_wait_dscnt 0x0
	s_clause 0x1
	global_store_b32 v[32:33], v34, off
	global_store_b32 v[0:1], v35, off
.LBB0_25:
	s_nop 0
	s_sendmsg sendmsg(MSG_DEALLOC_VGPRS)
	s_endpgm
	.section	.rodata,"a",@progbits
	.p2align	6, 0x0
	.amdhsa_kernel fft_rtc_fwd_len2040_factors_17_4_3_10_wgs_170_tpt_170_halfLds_half_ip_CI_unitstride_sbrr_C2R_dirReg
		.amdhsa_group_segment_fixed_size 0
		.amdhsa_private_segment_fixed_size 0
		.amdhsa_kernarg_size 88
		.amdhsa_user_sgpr_count 2
		.amdhsa_user_sgpr_dispatch_ptr 0
		.amdhsa_user_sgpr_queue_ptr 0
		.amdhsa_user_sgpr_kernarg_segment_ptr 1
		.amdhsa_user_sgpr_dispatch_id 0
		.amdhsa_user_sgpr_private_segment_size 0
		.amdhsa_wavefront_size32 1
		.amdhsa_uses_dynamic_stack 0
		.amdhsa_enable_private_segment 0
		.amdhsa_system_sgpr_workgroup_id_x 1
		.amdhsa_system_sgpr_workgroup_id_y 0
		.amdhsa_system_sgpr_workgroup_id_z 0
		.amdhsa_system_sgpr_workgroup_info 0
		.amdhsa_system_vgpr_workitem_id 0
		.amdhsa_next_free_vgpr 191
		.amdhsa_next_free_sgpr 32
		.amdhsa_reserve_vcc 1
		.amdhsa_float_round_mode_32 0
		.amdhsa_float_round_mode_16_64 0
		.amdhsa_float_denorm_mode_32 3
		.amdhsa_float_denorm_mode_16_64 3
		.amdhsa_fp16_overflow 0
		.amdhsa_workgroup_processor_mode 1
		.amdhsa_memory_ordered 1
		.amdhsa_forward_progress 0
		.amdhsa_round_robin_scheduling 0
		.amdhsa_exception_fp_ieee_invalid_op 0
		.amdhsa_exception_fp_denorm_src 0
		.amdhsa_exception_fp_ieee_div_zero 0
		.amdhsa_exception_fp_ieee_overflow 0
		.amdhsa_exception_fp_ieee_underflow 0
		.amdhsa_exception_fp_ieee_inexact 0
		.amdhsa_exception_int_div_zero 0
	.end_amdhsa_kernel
	.text
.Lfunc_end0:
	.size	fft_rtc_fwd_len2040_factors_17_4_3_10_wgs_170_tpt_170_halfLds_half_ip_CI_unitstride_sbrr_C2R_dirReg, .Lfunc_end0-fft_rtc_fwd_len2040_factors_17_4_3_10_wgs_170_tpt_170_halfLds_half_ip_CI_unitstride_sbrr_C2R_dirReg
                                        ; -- End function
	.section	.AMDGPU.csdata,"",@progbits
; Kernel info:
; codeLenInByte = 15644
; NumSgprs: 34
; NumVgprs: 191
; ScratchSize: 0
; MemoryBound: 0
; FloatMode: 240
; IeeeMode: 1
; LDSByteSize: 0 bytes/workgroup (compile time only)
; SGPRBlocks: 4
; VGPRBlocks: 23
; NumSGPRsForWavesPerEU: 34
; NumVGPRsForWavesPerEU: 191
; Occupancy: 8
; WaveLimiterHint : 1
; COMPUTE_PGM_RSRC2:SCRATCH_EN: 0
; COMPUTE_PGM_RSRC2:USER_SGPR: 2
; COMPUTE_PGM_RSRC2:TRAP_HANDLER: 0
; COMPUTE_PGM_RSRC2:TGID_X_EN: 1
; COMPUTE_PGM_RSRC2:TGID_Y_EN: 0
; COMPUTE_PGM_RSRC2:TGID_Z_EN: 0
; COMPUTE_PGM_RSRC2:TIDIG_COMP_CNT: 0
	.text
	.p2alignl 7, 3214868480
	.fill 96, 4, 3214868480
	.type	__hip_cuid_bca9558dc4adab58,@object ; @__hip_cuid_bca9558dc4adab58
	.section	.bss,"aw",@nobits
	.globl	__hip_cuid_bca9558dc4adab58
__hip_cuid_bca9558dc4adab58:
	.byte	0                               ; 0x0
	.size	__hip_cuid_bca9558dc4adab58, 1

	.ident	"AMD clang version 19.0.0git (https://github.com/RadeonOpenCompute/llvm-project roc-6.4.0 25133 c7fe45cf4b819c5991fe208aaa96edf142730f1d)"
	.section	".note.GNU-stack","",@progbits
	.addrsig
	.addrsig_sym __hip_cuid_bca9558dc4adab58
	.amdgpu_metadata
---
amdhsa.kernels:
  - .args:
      - .actual_access:  read_only
        .address_space:  global
        .offset:         0
        .size:           8
        .value_kind:     global_buffer
      - .offset:         8
        .size:           8
        .value_kind:     by_value
      - .actual_access:  read_only
        .address_space:  global
        .offset:         16
        .size:           8
        .value_kind:     global_buffer
      - .actual_access:  read_only
        .address_space:  global
        .offset:         24
        .size:           8
        .value_kind:     global_buffer
      - .offset:         32
        .size:           8
        .value_kind:     by_value
      - .actual_access:  read_only
        .address_space:  global
        .offset:         40
        .size:           8
        .value_kind:     global_buffer
      - .actual_access:  read_only
        .address_space:  global
        .offset:         48
        .size:           8
        .value_kind:     global_buffer
      - .offset:         56
        .size:           4
        .value_kind:     by_value
      - .actual_access:  read_only
        .address_space:  global
        .offset:         64
        .size:           8
        .value_kind:     global_buffer
      - .actual_access:  read_only
        .address_space:  global
        .offset:         72
        .size:           8
        .value_kind:     global_buffer
      - .address_space:  global
        .offset:         80
        .size:           8
        .value_kind:     global_buffer
    .group_segment_fixed_size: 0
    .kernarg_segment_align: 8
    .kernarg_segment_size: 88
    .language:       OpenCL C
    .language_version:
      - 2
      - 0
    .max_flat_workgroup_size: 170
    .name:           fft_rtc_fwd_len2040_factors_17_4_3_10_wgs_170_tpt_170_halfLds_half_ip_CI_unitstride_sbrr_C2R_dirReg
    .private_segment_fixed_size: 0
    .sgpr_count:     34
    .sgpr_spill_count: 0
    .symbol:         fft_rtc_fwd_len2040_factors_17_4_3_10_wgs_170_tpt_170_halfLds_half_ip_CI_unitstride_sbrr_C2R_dirReg.kd
    .uniform_work_group_size: 1
    .uses_dynamic_stack: false
    .vgpr_count:     191
    .vgpr_spill_count: 0
    .wavefront_size: 32
    .workgroup_processor_mode: 1
amdhsa.target:   amdgcn-amd-amdhsa--gfx1201
amdhsa.version:
  - 1
  - 2
...

	.end_amdgpu_metadata
